;; amdgpu-corpus repo=ROCm/rocFFT kind=compiled arch=gfx1201 opt=O3
	.text
	.amdgcn_target "amdgcn-amd-amdhsa--gfx1201"
	.amdhsa_code_object_version 6
	.protected	fft_rtc_back_len338_factors_13_2_13_wgs_52_tpt_26_halfLds_dp_ip_CI_sbrr_dirReg ; -- Begin function fft_rtc_back_len338_factors_13_2_13_wgs_52_tpt_26_halfLds_dp_ip_CI_sbrr_dirReg
	.globl	fft_rtc_back_len338_factors_13_2_13_wgs_52_tpt_26_halfLds_dp_ip_CI_sbrr_dirReg
	.p2align	8
	.type	fft_rtc_back_len338_factors_13_2_13_wgs_52_tpt_26_halfLds_dp_ip_CI_sbrr_dirReg,@function
fft_rtc_back_len338_factors_13_2_13_wgs_52_tpt_26_halfLds_dp_ip_CI_sbrr_dirReg: ; @fft_rtc_back_len338_factors_13_2_13_wgs_52_tpt_26_halfLds_dp_ip_CI_sbrr_dirReg
; %bb.0:
	s_clause 0x2
	s_load_b64 s[12:13], s[0:1], 0x18
	s_load_b128 s[4:7], s[0:1], 0x0
	s_load_b64 s[10:11], s[0:1], 0x50
	v_mul_u32_u24_e32 v1, 0x9d9, v0
	v_mov_b32_e32 v3, 0
	s_delay_alu instid0(VALU_DEP_2) | instskip(SKIP_2) | instid1(VALU_DEP_4)
	v_lshrrev_b32_e32 v52, 16, v1
	v_mov_b32_e32 v1, 0
	v_mov_b32_e32 v2, 0
	;; [unrolled: 1-line block ×3, first 2 shown]
	s_delay_alu instid0(VALU_DEP_4) | instskip(SKIP_3) | instid1(VALU_DEP_1)
	v_lshl_add_u32 v5, ttmp9, 1, v52
	s_wait_kmcnt 0x0
	s_load_b64 s[8:9], s[12:13], 0x0
	v_cmp_lt_u64_e64 s2, s[6:7], 2
	s_and_b32 vcc_lo, exec_lo, s2
	s_cbranch_vccnz .LBB0_8
; %bb.1:
	s_load_b64 s[2:3], s[0:1], 0x10
	v_mov_b32_e32 v1, 0
	v_mov_b32_e32 v2, 0
	s_add_nc_u64 s[14:15], s[12:13], 8
	s_mov_b64 s[16:17], 1
	s_wait_kmcnt 0x0
	s_add_nc_u64 s[18:19], s[2:3], 8
	s_mov_b32 s3, 0
.LBB0_2:                                ; =>This Inner Loop Header: Depth=1
	s_load_b64 s[20:21], s[18:19], 0x0
                                        ; implicit-def: $vgpr7_vgpr8
	s_mov_b32 s2, exec_lo
	s_wait_kmcnt 0x0
	v_or_b32_e32 v4, s21, v6
	s_delay_alu instid0(VALU_DEP_1)
	v_cmpx_ne_u64_e32 0, v[3:4]
	s_wait_alu 0xfffe
	s_xor_b32 s22, exec_lo, s2
	s_cbranch_execz .LBB0_4
; %bb.3:                                ;   in Loop: Header=BB0_2 Depth=1
	s_cvt_f32_u32 s2, s20
	s_cvt_f32_u32 s23, s21
	s_sub_nc_u64 s[26:27], 0, s[20:21]
	s_wait_alu 0xfffe
	s_delay_alu instid0(SALU_CYCLE_1) | instskip(SKIP_1) | instid1(SALU_CYCLE_2)
	s_fmamk_f32 s2, s23, 0x4f800000, s2
	s_wait_alu 0xfffe
	v_s_rcp_f32 s2, s2
	s_delay_alu instid0(TRANS32_DEP_1) | instskip(SKIP_1) | instid1(SALU_CYCLE_2)
	s_mul_f32 s2, s2, 0x5f7ffffc
	s_wait_alu 0xfffe
	s_mul_f32 s23, s2, 0x2f800000
	s_wait_alu 0xfffe
	s_delay_alu instid0(SALU_CYCLE_2) | instskip(SKIP_1) | instid1(SALU_CYCLE_2)
	s_trunc_f32 s23, s23
	s_wait_alu 0xfffe
	s_fmamk_f32 s2, s23, 0xcf800000, s2
	s_cvt_u32_f32 s25, s23
	s_wait_alu 0xfffe
	s_delay_alu instid0(SALU_CYCLE_1) | instskip(SKIP_1) | instid1(SALU_CYCLE_2)
	s_cvt_u32_f32 s24, s2
	s_wait_alu 0xfffe
	s_mul_u64 s[28:29], s[26:27], s[24:25]
	s_wait_alu 0xfffe
	s_mul_hi_u32 s31, s24, s29
	s_mul_i32 s30, s24, s29
	s_mul_hi_u32 s2, s24, s28
	s_mul_i32 s33, s25, s28
	s_wait_alu 0xfffe
	s_add_nc_u64 s[30:31], s[2:3], s[30:31]
	s_mul_hi_u32 s23, s25, s28
	s_mul_hi_u32 s34, s25, s29
	s_add_co_u32 s2, s30, s33
	s_wait_alu 0xfffe
	s_add_co_ci_u32 s2, s31, s23
	s_mul_i32 s28, s25, s29
	s_add_co_ci_u32 s29, s34, 0
	s_wait_alu 0xfffe
	s_add_nc_u64 s[28:29], s[2:3], s[28:29]
	s_wait_alu 0xfffe
	v_add_co_u32 v4, s2, s24, s28
	s_delay_alu instid0(VALU_DEP_1) | instskip(SKIP_1) | instid1(VALU_DEP_1)
	s_cmp_lg_u32 s2, 0
	s_add_co_ci_u32 s25, s25, s29
	v_readfirstlane_b32 s24, v4
	s_wait_alu 0xfffe
	s_delay_alu instid0(VALU_DEP_1)
	s_mul_u64 s[26:27], s[26:27], s[24:25]
	s_wait_alu 0xfffe
	s_mul_hi_u32 s29, s24, s27
	s_mul_i32 s28, s24, s27
	s_mul_hi_u32 s2, s24, s26
	s_mul_i32 s30, s25, s26
	s_wait_alu 0xfffe
	s_add_nc_u64 s[28:29], s[2:3], s[28:29]
	s_mul_hi_u32 s23, s25, s26
	s_mul_hi_u32 s24, s25, s27
	s_wait_alu 0xfffe
	s_add_co_u32 s2, s28, s30
	s_add_co_ci_u32 s2, s29, s23
	s_mul_i32 s26, s25, s27
	s_add_co_ci_u32 s27, s24, 0
	s_wait_alu 0xfffe
	s_add_nc_u64 s[26:27], s[2:3], s[26:27]
	s_wait_alu 0xfffe
	v_add_co_u32 v4, s2, v4, s26
	s_delay_alu instid0(VALU_DEP_1) | instskip(SKIP_1) | instid1(VALU_DEP_1)
	s_cmp_lg_u32 s2, 0
	s_add_co_ci_u32 s2, s25, s27
	v_mul_hi_u32 v13, v5, v4
	s_wait_alu 0xfffe
	v_mad_co_u64_u32 v[7:8], null, v5, s2, 0
	v_mad_co_u64_u32 v[9:10], null, v6, v4, 0
	;; [unrolled: 1-line block ×3, first 2 shown]
	s_delay_alu instid0(VALU_DEP_3) | instskip(SKIP_1) | instid1(VALU_DEP_4)
	v_add_co_u32 v4, vcc_lo, v13, v7
	s_wait_alu 0xfffd
	v_add_co_ci_u32_e32 v7, vcc_lo, 0, v8, vcc_lo
	s_delay_alu instid0(VALU_DEP_2) | instskip(SKIP_1) | instid1(VALU_DEP_2)
	v_add_co_u32 v4, vcc_lo, v4, v9
	s_wait_alu 0xfffd
	v_add_co_ci_u32_e32 v4, vcc_lo, v7, v10, vcc_lo
	s_wait_alu 0xfffd
	v_add_co_ci_u32_e32 v7, vcc_lo, 0, v12, vcc_lo
	s_delay_alu instid0(VALU_DEP_2) | instskip(SKIP_1) | instid1(VALU_DEP_2)
	v_add_co_u32 v4, vcc_lo, v4, v11
	s_wait_alu 0xfffd
	v_add_co_ci_u32_e32 v9, vcc_lo, 0, v7, vcc_lo
	s_delay_alu instid0(VALU_DEP_2) | instskip(SKIP_1) | instid1(VALU_DEP_3)
	v_mul_lo_u32 v10, s21, v4
	v_mad_co_u64_u32 v[7:8], null, s20, v4, 0
	v_mul_lo_u32 v11, s20, v9
	s_delay_alu instid0(VALU_DEP_2) | instskip(NEXT) | instid1(VALU_DEP_2)
	v_sub_co_u32 v7, vcc_lo, v5, v7
	v_add3_u32 v8, v8, v11, v10
	s_delay_alu instid0(VALU_DEP_1) | instskip(SKIP_1) | instid1(VALU_DEP_1)
	v_sub_nc_u32_e32 v10, v6, v8
	s_wait_alu 0xfffd
	v_subrev_co_ci_u32_e64 v10, s2, s21, v10, vcc_lo
	v_add_co_u32 v11, s2, v4, 2
	s_wait_alu 0xf1ff
	v_add_co_ci_u32_e64 v12, s2, 0, v9, s2
	v_sub_co_u32 v13, s2, v7, s20
	v_sub_co_ci_u32_e32 v8, vcc_lo, v6, v8, vcc_lo
	s_wait_alu 0xf1ff
	v_subrev_co_ci_u32_e64 v10, s2, 0, v10, s2
	s_delay_alu instid0(VALU_DEP_3) | instskip(NEXT) | instid1(VALU_DEP_3)
	v_cmp_le_u32_e32 vcc_lo, s20, v13
	v_cmp_eq_u32_e64 s2, s21, v8
	s_wait_alu 0xfffd
	v_cndmask_b32_e64 v13, 0, -1, vcc_lo
	v_cmp_le_u32_e32 vcc_lo, s21, v10
	s_wait_alu 0xfffd
	v_cndmask_b32_e64 v14, 0, -1, vcc_lo
	v_cmp_le_u32_e32 vcc_lo, s20, v7
	;; [unrolled: 3-line block ×3, first 2 shown]
	s_wait_alu 0xfffd
	v_cndmask_b32_e64 v15, 0, -1, vcc_lo
	v_cmp_eq_u32_e32 vcc_lo, s21, v10
	s_wait_alu 0xf1ff
	s_delay_alu instid0(VALU_DEP_2)
	v_cndmask_b32_e64 v7, v15, v7, s2
	s_wait_alu 0xfffd
	v_cndmask_b32_e32 v10, v14, v13, vcc_lo
	v_add_co_u32 v13, vcc_lo, v4, 1
	s_wait_alu 0xfffd
	v_add_co_ci_u32_e32 v14, vcc_lo, 0, v9, vcc_lo
	s_delay_alu instid0(VALU_DEP_3) | instskip(SKIP_2) | instid1(VALU_DEP_3)
	v_cmp_ne_u32_e32 vcc_lo, 0, v10
	s_wait_alu 0xfffd
	v_cndmask_b32_e32 v10, v13, v11, vcc_lo
	v_cndmask_b32_e32 v8, v14, v12, vcc_lo
	v_cmp_ne_u32_e32 vcc_lo, 0, v7
	s_wait_alu 0xfffd
	s_delay_alu instid0(VALU_DEP_2)
	v_dual_cndmask_b32 v7, v4, v10 :: v_dual_cndmask_b32 v8, v9, v8
.LBB0_4:                                ;   in Loop: Header=BB0_2 Depth=1
	s_wait_alu 0xfffe
	s_and_not1_saveexec_b32 s2, s22
	s_cbranch_execz .LBB0_6
; %bb.5:                                ;   in Loop: Header=BB0_2 Depth=1
	v_cvt_f32_u32_e32 v4, s20
	s_sub_co_i32 s22, 0, s20
	s_delay_alu instid0(VALU_DEP_1) | instskip(NEXT) | instid1(TRANS32_DEP_1)
	v_rcp_iflag_f32_e32 v4, v4
	v_mul_f32_e32 v4, 0x4f7ffffe, v4
	s_delay_alu instid0(VALU_DEP_1) | instskip(SKIP_1) | instid1(VALU_DEP_1)
	v_cvt_u32_f32_e32 v4, v4
	s_wait_alu 0xfffe
	v_mul_lo_u32 v7, s22, v4
	s_delay_alu instid0(VALU_DEP_1) | instskip(NEXT) | instid1(VALU_DEP_1)
	v_mul_hi_u32 v7, v4, v7
	v_add_nc_u32_e32 v4, v4, v7
	s_delay_alu instid0(VALU_DEP_1) | instskip(NEXT) | instid1(VALU_DEP_1)
	v_mul_hi_u32 v4, v5, v4
	v_mul_lo_u32 v7, v4, s20
	v_add_nc_u32_e32 v8, 1, v4
	s_delay_alu instid0(VALU_DEP_2) | instskip(NEXT) | instid1(VALU_DEP_1)
	v_sub_nc_u32_e32 v7, v5, v7
	v_subrev_nc_u32_e32 v9, s20, v7
	v_cmp_le_u32_e32 vcc_lo, s20, v7
	s_wait_alu 0xfffd
	s_delay_alu instid0(VALU_DEP_2) | instskip(NEXT) | instid1(VALU_DEP_1)
	v_dual_cndmask_b32 v7, v7, v9 :: v_dual_cndmask_b32 v4, v4, v8
	v_cmp_le_u32_e32 vcc_lo, s20, v7
	s_delay_alu instid0(VALU_DEP_2) | instskip(SKIP_1) | instid1(VALU_DEP_1)
	v_add_nc_u32_e32 v8, 1, v4
	s_wait_alu 0xfffd
	v_dual_cndmask_b32 v7, v4, v8 :: v_dual_mov_b32 v8, v3
.LBB0_6:                                ;   in Loop: Header=BB0_2 Depth=1
	s_wait_alu 0xfffe
	s_or_b32 exec_lo, exec_lo, s2
	s_load_b64 s[22:23], s[14:15], 0x0
	s_delay_alu instid0(VALU_DEP_1)
	v_mul_lo_u32 v4, v8, s20
	v_mul_lo_u32 v11, v7, s21
	v_mad_co_u64_u32 v[9:10], null, v7, s20, 0
	s_add_nc_u64 s[16:17], s[16:17], 1
	s_add_nc_u64 s[14:15], s[14:15], 8
	s_wait_alu 0xfffe
	v_cmp_ge_u64_e64 s2, s[16:17], s[6:7]
	s_add_nc_u64 s[18:19], s[18:19], 8
	s_delay_alu instid0(VALU_DEP_2) | instskip(NEXT) | instid1(VALU_DEP_3)
	v_add3_u32 v4, v10, v11, v4
	v_sub_co_u32 v5, vcc_lo, v5, v9
	s_wait_alu 0xfffd
	s_delay_alu instid0(VALU_DEP_2) | instskip(SKIP_3) | instid1(VALU_DEP_2)
	v_sub_co_ci_u32_e32 v4, vcc_lo, v6, v4, vcc_lo
	s_and_b32 vcc_lo, exec_lo, s2
	s_wait_kmcnt 0x0
	v_mul_lo_u32 v6, s23, v5
	v_mul_lo_u32 v4, s22, v4
	v_mad_co_u64_u32 v[1:2], null, s22, v5, v[1:2]
	s_delay_alu instid0(VALU_DEP_1)
	v_add3_u32 v2, v6, v2, v4
	s_wait_alu 0xfffe
	s_cbranch_vccnz .LBB0_9
; %bb.7:                                ;   in Loop: Header=BB0_2 Depth=1
	v_dual_mov_b32 v5, v7 :: v_dual_mov_b32 v6, v8
	s_branch .LBB0_2
.LBB0_8:
	v_dual_mov_b32 v8, v6 :: v_dual_mov_b32 v7, v5
.LBB0_9:
	s_lshl_b64 s[2:3], s[6:7], 3
	v_mul_hi_u32 v3, 0x9d89d8a, v0
	s_wait_alu 0xfffe
	s_add_nc_u64 s[2:3], s[12:13], s[2:3]
	s_load_b64 s[0:1], s[0:1], 0x20
	s_load_b64 s[2:3], s[2:3], 0x0
	s_delay_alu instid0(VALU_DEP_1) | instskip(NEXT) | instid1(VALU_DEP_1)
	v_mul_u32_u24_e32 v3, 26, v3
	v_sub_nc_u32_e32 v87, v0, v3
	s_delay_alu instid0(VALU_DEP_1)
	v_add_nc_u32_e32 v95, 26, v87
	v_add_nc_u32_e32 v96, 52, v87
	;; [unrolled: 1-line block ×4, first 2 shown]
	s_wait_kmcnt 0x0
	v_cmp_gt_u64_e32 vcc_lo, s[0:1], v[7:8]
	v_mul_lo_u32 v3, s2, v8
	v_mul_lo_u32 v4, s3, v7
	v_mad_co_u64_u32 v[0:1], null, s2, v7, v[1:2]
	v_cmp_le_u64_e64 s0, s[0:1], v[7:8]
	v_add_nc_u32_e32 v100, 0x82, v87
	v_add_nc_u32_e32 v94, 0x9c, v87
                                        ; implicit-def: $sgpr2
	s_delay_alu instid0(VALU_DEP_4) | instskip(NEXT) | instid1(VALU_DEP_4)
	v_add3_u32 v1, v4, v1, v3
	s_and_saveexec_b32 s1, s0
	s_wait_alu 0xfffe
	s_xor_b32 s0, exec_lo, s1
; %bb.10:
	v_add_nc_u32_e32 v95, 26, v87
	v_add_nc_u32_e32 v96, 52, v87
	;; [unrolled: 1-line block ×6, first 2 shown]
	s_mov_b32 s2, 0
; %bb.11:
	s_wait_alu 0xfffe
	s_or_saveexec_b32 s1, s0
	v_lshlrev_b64_e32 v[64:65], 4, v[0:1]
	v_mov_b32_e32 v86, s2
                                        ; implicit-def: $vgpr2_vgpr3
                                        ; implicit-def: $vgpr10_vgpr11
                                        ; implicit-def: $vgpr14_vgpr15
                                        ; implicit-def: $vgpr30_vgpr31
                                        ; implicit-def: $vgpr50_vgpr51
                                        ; implicit-def: $vgpr26_vgpr27
                                        ; implicit-def: $vgpr22_vgpr23
                                        ; implicit-def: $vgpr18_vgpr19
                                        ; implicit-def: $vgpr34_vgpr35
                                        ; implicit-def: $vgpr42_vgpr43
                                        ; implicit-def: $vgpr46_vgpr47
                                        ; implicit-def: $vgpr38_vgpr39
                                        ; implicit-def: $vgpr6_vgpr7
	s_wait_alu 0xfffe
	s_xor_b32 exec_lo, exec_lo, s1
	s_cbranch_execz .LBB0_13
; %bb.12:
	v_mad_co_u64_u32 v[0:1], null, s8, v87, 0
	v_mad_co_u64_u32 v[2:3], null, s8, v95, 0
	;; [unrolled: 1-line block ×4, first 2 shown]
	v_add_co_u32 v50, s0, s10, v64
	s_delay_alu instid0(VALU_DEP_4)
	v_mad_co_u64_u32 v[4:5], null, s9, v87, v[1:2]
	s_wait_alu 0xf1ff
	v_add_co_ci_u32_e64 v51, s0, s11, v65, s0
	v_mad_co_u64_u32 v[14:15], null, s8, v94, 0
	v_add_nc_u32_e32 v53, 0x11e, v87
	v_add_nc_u32_e32 v16, 0xb6, v87
	v_mad_co_u64_u32 v[5:6], null, s9, v95, v[3:4]
	v_dual_mov_b32 v1, v4 :: v_dual_mov_b32 v4, v9
	s_delay_alu instid0(VALU_DEP_4) | instskip(NEXT) | instid1(VALU_DEP_4)
	v_mad_co_u64_u32 v[28:29], null, s8, v53, 0
	v_mad_co_u64_u32 v[20:21], null, s8, v16, 0
	s_delay_alu instid0(VALU_DEP_4) | instskip(NEXT) | instid1(VALU_DEP_4)
	v_mov_b32_e32 v3, v5
	v_lshlrev_b64_e32 v[0:1], 4, v[0:1]
	v_dual_mov_b32 v5, v11 :: v_dual_add_nc_u32 v54, 0x138, v87
	v_mov_b32_e32 v86, v87
	s_delay_alu instid0(VALU_DEP_4) | instskip(NEXT) | instid1(VALU_DEP_4)
	v_lshlrev_b64_e32 v[2:3], 4, v[2:3]
	v_add_co_u32 v0, s0, v50, v0
	s_delay_alu instid0(VALU_DEP_4) | instskip(SKIP_2) | instid1(VALU_DEP_4)
	v_mad_co_u64_u32 v[6:7], null, s9, v96, v[4:5]
	s_wait_alu 0xf1ff
	v_add_co_ci_u32_e64 v1, s0, v51, v1, s0
	v_add_co_u32 v2, s0, v50, v2
	s_wait_alu 0xf1ff
	v_add_co_ci_u32_e64 v3, s0, v51, v3, s0
	s_delay_alu instid0(VALU_DEP_4)
	v_mad_co_u64_u32 v[11:12], null, s9, v97, v[5:6]
	v_mov_b32_e32 v9, v6
	s_clause 0x1
	global_load_b128 v[4:7], v[0:1], off
	global_load_b128 v[36:39], v[2:3], off
	v_mad_co_u64_u32 v[12:13], null, s8, v98, 0
	v_mad_co_u64_u32 v[48:49], null, s8, v54, 0
	v_lshlrev_b64_e32 v[0:1], 4, v[8:9]
	v_mad_co_u64_u32 v[8:9], null, s8, v100, 0
	v_lshlrev_b64_e32 v[10:11], 4, v[10:11]
	v_mov_b32_e32 v2, v13
	s_delay_alu instid0(VALU_DEP_4) | instskip(SKIP_2) | instid1(VALU_DEP_3)
	v_add_co_u32 v0, s0, v50, v0
	s_wait_alu 0xf1ff
	v_add_co_ci_u32_e64 v1, s0, v51, v1, s0
	v_mad_co_u64_u32 v[2:3], null, s9, v98, v[2:3]
	v_mov_b32_e32 v3, v9
	v_add_co_u32 v9, s0, v50, v10
	s_wait_alu 0xf1ff
	v_add_co_ci_u32_e64 v10, s0, v51, v11, s0
	s_clause 0x1
	global_load_b128 v[44:47], v[0:1], off
	global_load_b128 v[40:43], v[9:10], off
	v_mov_b32_e32 v13, v2
	s_delay_alu instid0(VALU_DEP_1) | instskip(NEXT) | instid1(VALU_DEP_1)
	v_lshlrev_b64_e32 v[0:1], 4, v[12:13]
	v_add_co_u32 v0, s0, v50, v0
	s_wait_alu 0xf1ff
	s_delay_alu instid0(VALU_DEP_2) | instskip(SKIP_3) | instid1(VALU_DEP_1)
	v_add_co_ci_u32_e64 v1, s0, v51, v1, s0
	s_wait_loadcnt 0x3
	v_mad_co_u64_u32 v[2:3], null, s9, v100, v[3:4]
	v_mov_b32_e32 v3, v15
	v_mad_co_u64_u32 v[10:11], null, s9, v94, v[3:4]
	s_delay_alu instid0(VALU_DEP_3) | instskip(NEXT) | instid1(VALU_DEP_1)
	v_dual_mov_b32 v9, v2 :: v_dual_mov_b32 v2, v21
	v_lshlrev_b64_e32 v[8:9], 4, v[8:9]
	s_delay_alu instid0(VALU_DEP_2) | instskip(SKIP_2) | instid1(VALU_DEP_4)
	v_mad_co_u64_u32 v[2:3], null, s9, v16, v[2:3]
	v_add_nc_u32_e32 v3, 0xd0, v87
	v_mov_b32_e32 v15, v10
	v_add_co_u32 v8, s0, v50, v8
	s_delay_alu instid0(VALU_DEP_3)
	v_mad_co_u64_u32 v[12:13], null, s8, v3, 0
	v_mov_b32_e32 v21, v2
	s_wait_alu 0xf1ff
	v_add_co_ci_u32_e64 v9, s0, v51, v9, s0
	v_lshlrev_b64_e32 v[10:11], 4, v[14:15]
	s_clause 0x1
	global_load_b128 v[32:35], v[0:1], off
	global_load_b128 v[16:19], v[8:9], off
	v_mov_b32_e32 v2, v13
	v_lshlrev_b64_e32 v[8:9], 4, v[20:21]
	v_add_nc_u32_e32 v20, 0xea, v87
	v_add_nc_u32_e32 v21, 0x104, v87
	v_add_co_u32 v0, s0, v50, v10
	s_wait_alu 0xf1ff
	v_add_co_ci_u32_e64 v1, s0, v51, v11, s0
	v_mad_co_u64_u32 v[2:3], null, s9, v3, v[2:3]
	v_mad_co_u64_u32 v[10:11], null, s8, v20, 0
	;; [unrolled: 1-line block ×3, first 2 shown]
	v_add_co_u32 v8, s0, v50, v8
	s_delay_alu instid0(VALU_DEP_4) | instskip(SKIP_2) | instid1(VALU_DEP_4)
	v_mov_b32_e32 v13, v2
	s_wait_alu 0xf1ff
	v_add_co_ci_u32_e64 v9, s0, v51, v9, s0
	v_dual_mov_b32 v2, v11 :: v_dual_mov_b32 v3, v15
	s_delay_alu instid0(VALU_DEP_1)
	v_mad_co_u64_u32 v[30:31], null, s9, v20, v[2:3]
	v_mad_co_u64_u32 v[2:3], null, s9, v21, v[3:4]
	s_clause 0x1
	global_load_b128 v[20:23], v[0:1], off
	global_load_b128 v[24:27], v[8:9], off
	v_mov_b32_e32 v0, v29
	v_lshlrev_b64_e32 v[8:9], 4, v[12:13]
	v_mov_b32_e32 v11, v30
	s_delay_alu instid0(VALU_DEP_3)
	v_mad_co_u64_u32 v[0:1], null, s9, v53, v[0:1]
	v_mov_b32_e32 v15, v2
	v_mov_b32_e32 v1, v49
	v_add_co_u32 v2, s0, v50, v8
	s_wait_alu 0xf1ff
	v_add_co_ci_u32_e64 v3, s0, v51, v9, s0
	v_lshlrev_b64_e32 v[8:9], 4, v[10:11]
	s_delay_alu instid0(VALU_DEP_3) | instskip(SKIP_2) | instid1(VALU_DEP_4)
	v_mad_co_u64_u32 v[10:11], null, s9, v54, v[1:2]
	v_lshlrev_b64_e32 v[11:12], 4, v[14:15]
	v_mov_b32_e32 v29, v0
	v_add_co_u32 v0, s0, v50, v8
	s_wait_alu 0xf1ff
	v_add_co_ci_u32_e64 v1, s0, v51, v9, s0
	v_mov_b32_e32 v49, v10
	v_lshlrev_b64_e32 v[8:9], 4, v[28:29]
	v_add_co_u32 v10, s0, v50, v11
	s_wait_alu 0xf1ff
	v_add_co_ci_u32_e64 v11, s0, v51, v12, s0
	v_lshlrev_b64_e32 v[12:13], 4, v[48:49]
	s_delay_alu instid0(VALU_DEP_4) | instskip(SKIP_2) | instid1(VALU_DEP_3)
	v_add_co_u32 v8, s0, v50, v8
	s_wait_alu 0xf1ff
	v_add_co_ci_u32_e64 v9, s0, v51, v9, s0
	v_add_co_u32 v53, s0, v50, v12
	s_wait_alu 0xf1ff
	v_add_co_ci_u32_e64 v54, s0, v51, v13, s0
	s_clause 0x4
	global_load_b128 v[48:51], v[2:3], off
	global_load_b128 v[28:31], v[0:1], off
	;; [unrolled: 1-line block ×5, first 2 shown]
.LBB0_13:
	s_or_b32 exec_lo, exec_lo, s1
	s_wait_loadcnt 0xb
	v_add_f64_e32 v[53:54], v[36:37], v[4:5]
	s_wait_loadcnt 0x0
	v_add_f64_e64 v[55:56], v[38:39], -v[2:3]
	s_mov_b32 s44, 0x4267c47c
	s_mov_b32 s30, 0x42a4c3d2
	;; [unrolled: 1-line block ×10, first 2 shown]
	v_add_f64_e64 v[57:58], v[46:47], -v[10:11]
	v_add_f64_e32 v[59:60], v[0:1], v[36:37]
	s_mov_b32 s36, 0x66966769
	s_mov_b32 s37, 0xbfefc445
	;; [unrolled: 1-line block ×13, first 2 shown]
	s_wait_alu 0xfffe
	s_mov_b32 s40, s24
	s_mov_b32 s22, s36
	s_mov_b32 s28, s44
	s_mov_b32 s18, 0x93053d00
	s_mov_b32 s19, 0xbfef11f4
	s_mov_b32 s2, 0xebaa3ed8
	v_add_f64_e64 v[74:75], v[42:43], -v[14:15]
	v_add_f64_e32 v[76:77], v[8:9], v[44:45]
	s_mov_b32 s3, 0x3fbedb7d
	s_mov_b32 s43, 0x3fedeba7
	;; [unrolled: 1-line block ×3, first 2 shown]
	v_add_f64_e32 v[53:54], v[44:45], v[53:54]
	v_mul_f64_e32 v[61:62], s[44:45], v[55:56]
	v_mul_f64_e32 v[66:67], s[30:31], v[55:56]
	;; [unrolled: 1-line block ×6, first 2 shown]
	v_add_f64_e64 v[109:110], v[34:35], -v[30:31]
	s_mov_b32 s39, 0x3fcea1e5
	s_mov_b32 s38, s26
	;; [unrolled: 1-line block ×4, first 2 shown]
	v_mul_f64_e32 v[78:79], s[30:31], v[57:58]
	v_mul_f64_e32 v[80:81], s[20:21], v[57:58]
	;; [unrolled: 1-line block ×4, first 2 shown]
	s_wait_alu 0xfffe
	v_mul_f64_e32 v[88:89], s[22:23], v[57:58]
	v_mul_f64_e32 v[57:58], s[28:29], v[57:58]
	;; [unrolled: 1-line block ×7, first 2 shown]
	v_add_f64_e32 v[53:54], v[40:41], v[53:54]
	v_fma_f64 v[90:91], v[59:60], s[14:15], v[61:62]
	v_fma_f64 v[61:62], v[59:60], s[14:15], -v[61:62]
	v_fma_f64 v[92:93], v[59:60], s[6:7], -v[66:67]
	v_fma_f64 v[101:102], v[59:60], s[12:13], v[68:69]
	v_fma_f64 v[103:104], v[59:60], s[16:17], v[70:71]
	v_fma_f64 v[68:69], v[59:60], s[12:13], -v[68:69]
	v_fma_f64 v[105:106], v[59:60], s[18:19], v[72:73]
	v_fma_f64 v[72:73], v[59:60], s[18:19], -v[72:73]
	v_fma_f64 v[70:71], v[59:60], s[16:17], -v[70:71]
	;; [unrolled: 1-line block ×3, first 2 shown]
	v_fma_f64 v[66:67], v[59:60], s[6:7], v[66:67]
	v_fma_f64 v[55:56], v[59:60], s[2:3], v[55:56]
	v_add_f64_e32 v[59:60], v[12:13], v[40:41]
	v_mul_f64_e32 v[74:75], s[24:25], v[74:75]
	v_fma_f64 v[121:122], v[76:77], s[6:7], v[78:79]
	v_fma_f64 v[78:79], v[76:77], s[6:7], -v[78:79]
	v_fma_f64 v[123:124], v[76:77], s[12:13], v[80:81]
	v_fma_f64 v[80:81], v[76:77], s[12:13], -v[80:81]
	;; [unrolled: 2-line block ×6, first 2 shown]
	v_mul_f64_e32 v[133:134], s[20:21], v[109:110]
	v_mul_f64_e32 v[135:136], s[40:41], v[109:110]
	;; [unrolled: 1-line block ×6, first 2 shown]
	v_add_f64_e32 v[53:54], v[32:33], v[53:54]
	v_add_f64_e32 v[76:77], v[4:5], v[90:91]
	;; [unrolled: 1-line block ×14, first 2 shown]
	v_add_f64_e64 v[107:108], v[18:19], -v[50:51]
	v_fma_f64 v[143:144], v[59:60], s[2:3], v[111:112]
	v_fma_f64 v[111:112], v[59:60], s[2:3], -v[111:112]
	v_fma_f64 v[145:146], v[59:60], s[18:19], v[113:114]
	v_fma_f64 v[113:114], v[59:60], s[18:19], -v[113:114]
	;; [unrolled: 2-line block ×6, first 2 shown]
	v_add_f64_e32 v[53:54], v[16:17], v[53:54]
	v_add_f64_e32 v[74:75], v[121:122], v[76:77]
	;; [unrolled: 1-line block ×14, first 2 shown]
	v_add_f64_e64 v[88:89], v[22:23], -v[26:27]
	v_mul_f64_e32 v[90:91], s[24:25], v[107:108]
	v_mul_f64_e32 v[92:93], s[22:23], v[107:108]
	;; [unrolled: 1-line block ×4, first 2 shown]
	v_fma_f64 v[121:122], v[55:56], s[12:13], v[133:134]
	v_fma_f64 v[123:124], v[55:56], s[12:13], -v[133:134]
	v_fma_f64 v[125:126], v[55:56], s[2:3], v[139:140]
	v_fma_f64 v[127:128], v[55:56], s[2:3], -v[139:140]
	;; [unrolled: 2-line block ×3, first 2 shown]
	v_mul_f64_e32 v[101:102], s[30:31], v[107:108]
	v_mul_f64_e32 v[107:108], s[20:21], v[107:108]
	v_fma_f64 v[133:134], v[55:56], s[6:7], v[109:110]
	v_fma_f64 v[109:110], v[55:56], s[6:7], -v[109:110]
	v_fma_f64 v[131:132], v[55:56], s[18:19], -v[141:142]
	v_fma_f64 v[135:136], v[55:56], s[16:17], v[135:136]
	v_fma_f64 v[141:142], v[55:56], s[14:15], v[137:138]
	v_fma_f64 v[55:56], v[55:56], s[14:15], -v[137:138]
	v_add_f64_e32 v[53:54], v[20:21], v[53:54]
	v_add_f64_e32 v[74:75], v[143:144], v[74:75]
	;; [unrolled: 1-line block ×14, first 2 shown]
	v_mul_f64_e32 v[111:112], s[26:27], v[88:89]
	v_mul_f64_e32 v[113:114], s[28:29], v[88:89]
	;; [unrolled: 1-line block ×4, first 2 shown]
	v_fma_f64 v[137:138], v[82:83], s[16:17], v[90:91]
	v_fma_f64 v[90:91], v[82:83], s[16:17], -v[90:91]
	v_fma_f64 v[143:144], v[82:83], s[18:19], v[103:104]
	v_fma_f64 v[145:146], v[82:83], s[14:15], v[105:106]
	v_fma_f64 v[149:150], v[82:83], s[2:3], -v[92:93]
	v_mul_f64_e32 v[115:116], s[24:25], v[88:89]
	v_mul_f64_e32 v[88:89], s[22:23], v[88:89]
	v_fma_f64 v[103:104], v[82:83], s[18:19], -v[103:104]
	v_fma_f64 v[147:148], v[82:83], s[12:13], v[107:108]
	v_fma_f64 v[107:108], v[82:83], s[12:13], -v[107:108]
	v_fma_f64 v[105:106], v[82:83], s[14:15], -v[105:106]
	v_fma_f64 v[92:93], v[82:83], s[2:3], v[92:93]
	v_fma_f64 v[151:152], v[82:83], s[6:7], v[101:102]
	v_fma_f64 v[82:83], v[82:83], s[6:7], -v[101:102]
	v_add_f64_e32 v[53:54], v[24:25], v[53:54]
	v_add_f64_e32 v[74:75], v[121:122], v[74:75]
	;; [unrolled: 1-line block ×13, first 2 shown]
	v_fma_f64 v[70:71], v[72:73], s[18:19], v[111:112]
	v_fma_f64 v[101:102], v[72:73], s[18:19], -v[111:112]
	v_fma_f64 v[109:110], v[72:73], s[6:7], v[117:118]
	v_fma_f64 v[111:112], v[72:73], s[6:7], -v[117:118]
	;; [unrolled: 2-line block ×3, first 2 shown]
	v_fma_f64 v[119:120], v[72:73], s[12:13], -v[119:120]
	v_fma_f64 v[113:114], v[72:73], s[14:15], v[113:114]
	v_fma_f64 v[125:126], v[72:73], s[16:17], v[115:116]
	;; [unrolled: 1-line block ×3, first 2 shown]
	v_fma_f64 v[88:89], v[72:73], s[2:3], -v[88:89]
	v_fma_f64 v[72:73], v[72:73], s[16:17], -v[115:116]
	v_add_f64_e32 v[53:54], v[48:49], v[53:54]
	v_add_f64_e32 v[74:75], v[137:138], v[74:75]
	;; [unrolled: 1-line block ×26, first 2 shown]
	v_and_b32_e32 v4, 1, v52
	v_lshlrev_b32_e32 v102, 3, v94
	s_delay_alu instid0(VALU_DEP_2) | instskip(SKIP_1) | instid1(VALU_DEP_1)
	v_cmp_eq_u32_e64 s0, 1, v4
	s_wait_alu 0xf1ff
	v_cndmask_b32_e64 v5, 0, 0x152, s0
	v_cmp_gt_u32_e64 s0, 13, v87
	s_delay_alu instid0(VALU_DEP_2) | instskip(SKIP_1) | instid1(VALU_DEP_2)
	v_lshl_add_u32 v52, v5, 3, 0
	v_lshlrev_b32_e32 v101, 3, v5
	v_mad_u32_u24 v4, 0x68, v87, v52
	v_lshl_add_u32 v88, v87, 3, v52
	v_lshl_add_u32 v89, v95, 3, v52
	;; [unrolled: 1-line block ×4, first 2 shown]
	v_add_f64_e32 v[53:54], v[12:13], v[53:54]
	v_mad_i32_i24 v99, 0xffffffa0, v87, v4
	v_lshl_add_u32 v92, v98, 3, v52
	v_lshl_add_u32 v93, v100, 3, v52
	s_delay_alu instid0(VALU_DEP_3) | instskip(SKIP_1) | instid1(VALU_DEP_1)
	v_add_nc_u32_e32 v82, 0x800, v99
	v_add_f64_e32 v[53:54], v[8:9], v[53:54]
	v_add_f64_e32 v[53:54], v[0:1], v[53:54]
	ds_store_2addr_b64 v4, v[74:75], v[76:77] offset0:4 offset1:5
	ds_store_2addr_b64 v4, v[78:79], v[57:58] offset0:6 offset1:7
	;; [unrolled: 1-line block ×4, first 2 shown]
	ds_store_b64 v4, v[66:67] offset:96
	ds_store_2addr_b64 v4, v[53:54], v[70:71] offset1:1
	ds_store_2addr_b64 v4, v[72:73], v[80:81] offset0:2 offset1:3
	global_wb scope:SCOPE_SE
	s_wait_dscnt 0x0
	s_barrier_signal -1
	s_barrier_wait -1
	global_inv scope:SCOPE_SE
	ds_load_2addr_b64 v[56:59], v99 offset0:169 offset1:195
	ds_load_2addr_b64 v[52:55], v99 offset0:221 offset1:247
	ds_load_b64 v[70:71], v88
	ds_load_b64 v[72:73], v89
	ds_load_b64 v[74:75], v90
	ds_load_b64 v[76:77], v91
	ds_load_b64 v[78:79], v92
	ds_load_b64 v[80:81], v93
	ds_load_2addr_b64 v[60:63], v82 offset0:17 offset1:43
                                        ; implicit-def: $vgpr68_vgpr69
	s_and_saveexec_b32 s1, s0
	s_cbranch_execz .LBB0_15
; %bb.14:
	v_add3_u32 v5, 0, v102, v101
	ds_load_b64 v[66:67], v5
	ds_load_b64 v[68:69], v99 offset:2600
.LBB0_15:
	s_wait_alu 0xfffe
	s_or_b32 exec_lo, exec_lo, s1
	v_add_f64_e32 v[83:84], v[38:39], v[6:7]
	v_add_f64_e64 v[0:1], v[36:37], -v[0:1]
	v_add_f64_e64 v[8:9], v[44:45], -v[8:9]
	v_add_f64_e32 v[38:39], v[2:3], v[38:39]
	v_add_f64_e64 v[12:13], v[40:41], -v[12:13]
	v_add_f64_e32 v[40:41], v[10:11], v[46:47]
	v_add_f64_e64 v[28:29], v[32:33], -v[28:29]
	v_add_f64_e64 v[16:17], v[16:17], -v[48:49]
	;; [unrolled: 1-line block ×3, first 2 shown]
	global_wb scope:SCOPE_SE
	s_wait_dscnt 0x0
	s_barrier_signal -1
	s_barrier_wait -1
	global_inv scope:SCOPE_SE
	v_add_f64_e32 v[83:84], v[46:47], v[83:84]
	v_mul_f64_e32 v[44:45], s[44:45], v[0:1]
	v_mul_f64_e32 v[103:104], s[20:21], v[0:1]
	;; [unrolled: 1-line block ×18, first 2 shown]
	v_add_f64_e32 v[83:84], v[42:43], v[83:84]
	v_fma_f64 v[117:118], v[38:39], s[14:15], -v[44:45]
	v_fma_f64 v[44:45], v[38:39], s[14:15], v[44:45]
	v_fma_f64 v[121:122], v[38:39], s[12:13], -v[103:104]
	v_fma_f64 v[123:124], v[38:39], s[16:17], -v[105:106]
	v_fma_f64 v[103:104], v[38:39], s[12:13], v[103:104]
	v_fma_f64 v[125:126], v[38:39], s[18:19], -v[107:108]
	v_fma_f64 v[107:108], v[38:39], s[18:19], v[107:108]
	v_fma_f64 v[105:106], v[38:39], s[16:17], v[105:106]
	v_fma_f64 v[135:136], v[40:41], s[6:7], -v[46:47]
	v_fma_f64 v[46:47], v[40:41], s[6:7], v[46:47]
	v_fma_f64 v[137:138], v[40:41], s[12:13], -v[109:110]
	;; [unrolled: 2-line block ×6, first 2 shown]
	v_fma_f64 v[8:9], v[40:41], s[14:15], v[8:9]
	v_add_f64_e32 v[36:37], v[34:35], v[83:84]
	v_mul_f64_e32 v[83:84], s[30:31], v[0:1]
	v_mul_f64_e32 v[0:1], s[36:37], v[0:1]
	v_add_f64_e32 v[40:41], v[6:7], v[117:118]
	v_add_f64_e32 v[44:45], v[6:7], v[44:45]
	;; [unrolled: 1-line block ×6, first 2 shown]
	v_fma_f64 v[119:120], v[38:39], s[6:7], v[83:84]
	v_fma_f64 v[127:128], v[38:39], s[2:3], v[0:1]
	v_fma_f64 v[83:84], v[38:39], s[6:7], -v[83:84]
	v_fma_f64 v[0:1], v[38:39], s[2:3], -v[0:1]
	v_add_f64_e32 v[38:39], v[14:15], v[42:43]
	v_mul_f64_e32 v[42:43], s[26:27], v[12:13]
	v_mul_f64_e32 v[12:13], s[24:25], v[12:13]
	v_add_f64_e32 v[103:104], v[113:114], v[103:104]
	v_add_f64_e32 v[105:106], v[115:116], v[105:106]
	;; [unrolled: 1-line block ×3, first 2 shown]
	v_mul_f64_e32 v[115:116], s[38:39], v[16:17]
	v_add_f64_e32 v[36:37], v[22:23], v[36:37]
	v_add_f64_e32 v[117:118], v[6:7], v[119:120]
	v_add_f64_e32 v[119:120], v[6:7], v[121:122]
	v_add_f64_e32 v[121:122], v[6:7], v[123:124]
	v_add_f64_e32 v[123:124], v[6:7], v[125:126]
	v_add_f64_e32 v[125:126], v[6:7], v[127:128]
	v_add_f64_e32 v[83:84], v[6:7], v[83:84]
	v_add_f64_e32 v[0:1], v[6:7], v[0:1]
	v_add_f64_e32 v[5:6], v[30:31], v[34:35]
	v_mul_f64_e32 v[34:35], s[20:21], v[28:29]
	v_mul_f64_e32 v[127:128], s[28:29], v[28:29]
	;; [unrolled: 1-line block ×3, first 2 shown]
	v_fma_f64 v[151:152], v[38:39], s[2:3], -v[32:33]
	v_fma_f64 v[32:33], v[38:39], s[2:3], v[32:33]
	v_fma_f64 v[153:154], v[38:39], s[18:19], -v[42:43]
	v_fma_f64 v[42:43], v[38:39], s[18:19], v[42:43]
	;; [unrolled: 2-line block ×6, first 2 shown]
	v_add_f64_e32 v[38:39], v[135:136], v[40:41]
	v_add_f64_e32 v[40:41], v[46:47], v[44:45]
	;; [unrolled: 1-line block ×12, first 2 shown]
	v_mul_f64_e32 v[111:112], s[30:31], v[16:17]
	v_mul_f64_e32 v[117:118], s[28:29], v[16:17]
	v_fma_f64 v[119:120], v[5:6], s[12:13], -v[34:35]
	v_fma_f64 v[34:35], v[5:6], s[12:13], v[34:35]
	v_fma_f64 v[121:122], v[5:6], s[16:17], -v[48:49]
	v_fma_f64 v[48:49], v[5:6], s[16:17], v[48:49]
	;; [unrolled: 2-line block ×6, first 2 shown]
	v_mul_f64_e32 v[26:27], s[26:27], v[20:21]
	v_add_f64_e32 v[28:29], v[151:152], v[38:39]
	v_add_f64_e32 v[32:33], v[32:33], v[40:41]
	v_add_f64_e32 v[7:8], v[12:13], v[7:8]
	v_add_f64_e32 v[12:13], v[133:134], v[105:106]
	v_mul_f64_e32 v[105:106], s[24:25], v[20:21]
	v_fma_f64 v[133:134], v[18:19], s[18:19], -v[115:116]
	v_fma_f64 v[115:116], v[18:19], s[18:19], v[115:116]
	v_add_f64_e32 v[36:37], v[50:51], v[36:37]
	v_mul_f64_e32 v[50:51], s[22:23], v[16:17]
	v_mul_f64_e32 v[16:17], s[20:21], v[16:17]
	v_add_f64_e32 v[38:39], v[42:43], v[44:45]
	v_add_f64_e32 v[40:41], v[157:158], v[46:47]
	;; [unrolled: 1-line block ×8, first 2 shown]
	v_mul_f64_e32 v[107:108], s[34:35], v[20:21]
	v_mul_f64_e32 v[109:110], s[20:21], v[20:21]
	v_fma_f64 v[113:114], v[18:19], s[16:17], -v[24:25]
	v_fma_f64 v[24:25], v[18:19], s[16:17], v[24:25]
	v_fma_f64 v[131:132], v[18:19], s[6:7], -v[111:112]
	v_fma_f64 v[111:112], v[18:19], s[6:7], v[111:112]
	;; [unrolled: 2-line block ×3, first 2 shown]
	v_add_f64_e32 v[5:6], v[5:6], v[7:8]
	v_add_f64_e32 v[7:8], v[139:140], v[12:13]
	;; [unrolled: 1-line block ×3, first 2 shown]
	v_mul_f64_e32 v[36:37], s[28:29], v[20:21]
	v_mul_f64_e32 v[20:21], s[22:23], v[20:21]
	v_fma_f64 v[129:130], v[18:19], s[2:3], -v[50:51]
	v_fma_f64 v[50:51], v[18:19], s[2:3], v[50:51]
	v_fma_f64 v[145:146], v[18:19], s[12:13], -v[16:17]
	v_fma_f64 v[16:17], v[18:19], s[12:13], v[16:17]
	v_add_f64_e32 v[18:19], v[119:120], v[28:29]
	v_add_f64_e32 v[28:29], v[34:35], v[32:33]
	;; [unrolled: 1-line block ×10, first 2 shown]
	v_fma_f64 v[48:49], v[22:23], s[16:17], -v[105:106]
	v_fma_f64 v[83:84], v[22:23], s[16:17], v[105:106]
	v_fma_f64 v[103:104], v[22:23], s[6:7], -v[107:108]
	v_fma_f64 v[105:106], v[22:23], s[6:7], v[107:108]
	;; [unrolled: 2-line block ×3, first 2 shown]
	v_add_f64_e32 v[7:8], v[117:118], v[7:8]
	v_add_f64_e32 v[14:15], v[14:15], v[30:31]
	v_fma_f64 v[30:31], v[22:23], s[18:19], -v[26:27]
	v_fma_f64 v[26:27], v[22:23], s[18:19], v[26:27]
	v_fma_f64 v[46:47], v[22:23], s[14:15], -v[36:37]
	v_fma_f64 v[36:37], v[22:23], s[14:15], v[36:37]
	;; [unrolled: 2-line block ×3, first 2 shown]
	v_add_f64_e32 v[5:6], v[16:17], v[5:6]
	v_add_f64_e32 v[22:23], v[24:25], v[28:29]
	;; [unrolled: 1-line block ×11, first 2 shown]
                                        ; implicit-def: $vgpr42_vgpr43
	v_add_f64_e32 v[7:8], v[109:110], v[7:8]
	v_add_f64_e32 v[9:10], v[10:11], v[14:15]
	;; [unrolled: 1-line block ×14, first 2 shown]
	ds_store_2addr_b64 v4, v[22:23], v[26:27] offset0:4 offset1:5
	ds_store_2addr_b64 v4, v[28:29], v[5:6] offset0:6 offset1:7
	;; [unrolled: 1-line block ×4, first 2 shown]
	ds_store_b64 v4, v[40:41] offset:96
	ds_store_2addr_b64 v4, v[2:3], v[14:15] offset1:1
	ds_store_2addr_b64 v4, v[16:17], v[0:1] offset0:2 offset1:3
	global_wb scope:SCOPE_SE
	s_wait_dscnt 0x0
	s_barrier_signal -1
	s_barrier_wait -1
	global_inv scope:SCOPE_SE
	ds_load_2addr_b64 v[0:3], v99 offset0:169 offset1:195
	ds_load_2addr_b64 v[4:7], v99 offset0:221 offset1:247
	ds_load_b64 v[44:45], v88
	ds_load_b64 v[46:47], v89
	;; [unrolled: 1-line block ×4, first 2 shown]
	ds_load_2addr_b64 v[8:11], v82 offset0:17 offset1:43
	ds_load_b64 v[82:83], v92
	ds_load_b64 v[84:85], v93
	s_and_saveexec_b32 s1, s0
	s_cbranch_execz .LBB0_17
; %bb.16:
	v_add3_u32 v12, 0, v102, v101
	ds_load_b64 v[40:41], v12
	ds_load_b64 v[42:43], v99 offset:2600
.LBB0_17:
	s_wait_alu 0xfffe
	s_or_b32 exec_lo, exec_lo, s1
	v_and_b32_e32 v14, 0xff, v95
	v_dual_mov_b32 v104, 0 :: v_dual_and_b32 v15, 0xff, v96
	v_and_b32_e32 v16, 0xff, v97
	v_and_b32_e32 v17, 0xff, v98
	;; [unrolled: 1-line block ×3, first 2 shown]
	v_mul_lo_u16 v14, 0x4f, v14
	v_mul_lo_u16 v15, 0x4f, v15
	;; [unrolled: 1-line block ×5, first 2 shown]
	v_lshrrev_b16 v120, 10, v14
	v_add_nc_u32_e32 v12, -13, v87
	v_lshrrev_b16 v121, 10, v15
	v_lshrrev_b16 v122, 10, v16
	;; [unrolled: 1-line block ×4, first 2 shown]
	v_mul_lo_u16 v14, v120, 13
	v_cndmask_b32_e64 v103, v12, v87, s0
	v_mul_lo_u16 v15, v121, 13
	v_mul_lo_u16 v16, v122, 13
	;; [unrolled: 1-line block ×4, first 2 shown]
	v_sub_nc_u16 v14, v95, v14
	v_lshlrev_b64_e32 v[12:13], 4, v[103:104]
	v_sub_nc_u16 v15, v96, v15
	v_sub_nc_u16 v16, v97, v16
	v_sub_nc_u16 v17, v98, v17
	v_sub_nc_u16 v18, v100, v18
	v_and_b32_e32 v98, 0xff, v14
	v_and_b32_e32 v100, 0xff, v15
	v_add_co_u32 v12, s1, s4, v12
	v_and_b32_e32 v125, 0xff, v16
	v_and_b32_e32 v126, 0xff, v17
	;; [unrolled: 1-line block ×3, first 2 shown]
	s_wait_alu 0xf1ff
	v_add_co_ci_u32_e64 v13, s1, s5, v13, s1
	v_lshlrev_b32_e32 v14, 4, v98
	v_lshlrev_b32_e32 v15, 4, v100
	v_lshlrev_b32_e32 v28, 4, v125
	v_lshlrev_b32_e32 v32, 4, v126
	v_lshlrev_b32_e32 v36, 4, v127
	s_clause 0x5
	global_load_b128 v[16:19], v[12:13], off
	global_load_b128 v[20:23], v14, s[4:5]
	global_load_b128 v[24:27], v15, s[4:5]
	global_load_b128 v[28:31], v28, s[4:5]
	global_load_b128 v[32:35], v32, s[4:5]
	global_load_b128 v[36:39], v36, s[4:5]
	v_and_b32_e32 v12, 0xff, v94
	v_cmp_lt_u32_e64 s1, 12, v87
	s_delay_alu instid0(VALU_DEP_2) | instskip(SKIP_1) | instid1(VALU_DEP_2)
	v_mul_lo_u16 v12, 0x4f, v12
	s_wait_alu 0xf1ff
	v_cndmask_b32_e64 v129, 0, 0xd0, s1
	s_delay_alu instid0(VALU_DEP_2) | instskip(NEXT) | instid1(VALU_DEP_1)
	v_lshrrev_b16 v12, 10, v12
	v_mul_lo_u16 v12, v12, 13
	s_delay_alu instid0(VALU_DEP_1) | instskip(NEXT) | instid1(VALU_DEP_1)
	v_sub_nc_u16 v12, v94, v12
	v_and_b32_e32 v128, 0xff, v12
	s_delay_alu instid0(VALU_DEP_1)
	v_lshlrev_b32_e32 v12, 4, v128
	global_load_b128 v[12:15], v12, s[4:5]
	global_wb scope:SCOPE_SE
	s_wait_loadcnt_dscnt 0x0
	s_barrier_signal -1
	s_barrier_wait -1
	global_inv scope:SCOPE_SE
	v_mul_f64_e32 v[94:95], v[0:1], v[18:19]
	v_mul_f64_e32 v[96:97], v[2:3], v[22:23]
	;; [unrolled: 1-line block ×6, first 2 shown]
	v_fma_f64 v[94:95], v[56:57], v[16:17], v[94:95]
	v_fma_f64 v[96:97], v[58:59], v[20:21], v[96:97]
	;; [unrolled: 1-line block ×6, first 2 shown]
	v_add_f64_e64 v[94:95], v[70:71], -v[94:95]
	v_add_f64_e64 v[96:97], v[72:73], -v[96:97]
	;; [unrolled: 1-line block ×6, first 2 shown]
	v_fma_f64 v[112:113], v[70:71], 2.0, -v[94:95]
	v_fma_f64 v[114:115], v[72:73], 2.0, -v[96:97]
	;; [unrolled: 1-line block ×6, first 2 shown]
	v_add_nc_u32_e32 v70, 0, v129
	v_lshlrev_b32_e32 v71, 3, v103
	v_and_b32_e32 v72, 0xffff, v121
	v_and_b32_e32 v73, 0xffff, v122
	;; [unrolled: 1-line block ×4, first 2 shown]
	v_add3_u32 v70, v70, v71, v101
	v_and_b32_e32 v71, 0xffff, v120
	v_mad_u32_u24 v81, 0xd0, v72, 0
	v_mad_u32_u24 v103, 0xd0, v73, 0
	;; [unrolled: 1-line block ×5, first 2 shown]
	v_lshlrev_b32_e32 v72, 3, v98
	v_lshlrev_b32_e32 v73, 3, v100
	;; [unrolled: 1-line block ×6, first 2 shown]
	v_add3_u32 v72, v76, v72, v101
	v_add3_u32 v73, v81, v73, v101
	;; [unrolled: 1-line block ×5, first 2 shown]
	ds_store_2addr_b64 v70, v[112:113], v[94:95] offset1:13
	ds_store_2addr_b64 v72, v[114:115], v[96:97] offset1:13
	ds_store_2addr_b64 v73, v[116:117], v[104:105] offset1:13
	ds_store_2addr_b64 v74, v[118:119], v[106:107] offset1:13
	ds_store_2addr_b64 v75, v[77:78], v[108:109] offset1:13
	ds_store_2addr_b64 v76, v[79:80], v[110:111] offset1:13
	s_and_saveexec_b32 s1, s0
	s_cbranch_execz .LBB0_19
; %bb.18:
	v_mul_f64_e32 v[77:78], v[42:43], v[14:15]
	v_add3_u32 v79, 0, v71, v101
	s_delay_alu instid0(VALU_DEP_1) | instskip(NEXT) | instid1(VALU_DEP_3)
	v_add_nc_u32_e32 v79, 0x800, v79
	v_fma_f64 v[77:78], v[68:69], v[12:13], v[77:78]
	s_delay_alu instid0(VALU_DEP_1) | instskip(NEXT) | instid1(VALU_DEP_1)
	v_add_f64_e64 v[77:78], v[66:67], -v[77:78]
	v_fma_f64 v[66:67], v[66:67], 2.0, -v[77:78]
	ds_store_2addr_b64 v79, v[66:67], v[77:78] offset0:56 offset1:69
.LBB0_19:
	s_wait_alu 0xfffe
	s_or_b32 exec_lo, exec_lo, s1
	v_mul_f64_e32 v[18:19], v[56:57], v[18:19]
	v_mul_f64_e32 v[22:23], v[58:59], v[22:23]
	;; [unrolled: 1-line block ×6, first 2 shown]
	global_wb scope:SCOPE_SE
	s_wait_dscnt 0x0
	s_barrier_signal -1
	s_barrier_wait -1
	global_inv scope:SCOPE_SE
	v_fma_f64 v[0:1], v[0:1], v[16:17], -v[18:19]
	v_fma_f64 v[2:3], v[2:3], v[20:21], -v[22:23]
	;; [unrolled: 1-line block ×6, first 2 shown]
	v_add3_u32 v36, 0, v102, v101
	ds_load_b64 v[16:17], v88
	ds_load_b64 v[18:19], v89
	;; [unrolled: 1-line block ×4, first 2 shown]
	v_add_f64_e64 v[30:31], v[44:45], -v[0:1]
	v_add_f64_e64 v[32:33], v[46:47], -v[2:3]
	;; [unrolled: 1-line block ×6, first 2 shown]
	v_add_nc_u32_e32 v0, 0x400, v99
	v_add_nc_u32_e32 v1, 0x800, v99
	ds_load_2addr_b64 v[8:11], v99 offset0:182 offset1:208
	ds_load_b64 v[24:25], v92
	ds_load_b64 v[26:27], v93
	;; [unrolled: 1-line block ×3, first 2 shown]
	ds_load_2addr_b64 v[4:7], v0 offset0:106 offset1:132
	ds_load_2addr_b64 v[0:3], v1 offset0:30 offset1:56
	global_wb scope:SCOPE_SE
	s_wait_dscnt 0x0
	s_barrier_signal -1
	s_barrier_wait -1
	global_inv scope:SCOPE_SE
	v_fma_f64 v[44:45], v[44:45], 2.0, -v[30:31]
	v_fma_f64 v[46:47], v[46:47], 2.0, -v[32:33]
	;; [unrolled: 1-line block ×6, first 2 shown]
	ds_store_2addr_b64 v70, v[44:45], v[30:31] offset1:13
	ds_store_2addr_b64 v72, v[46:47], v[32:33] offset1:13
	;; [unrolled: 1-line block ×6, first 2 shown]
	s_and_saveexec_b32 s1, s0
	s_cbranch_execz .LBB0_21
; %bb.20:
	v_mul_f64_e32 v[14:15], v[68:69], v[14:15]
	v_add3_u32 v30, 0, v71, v101
	s_delay_alu instid0(VALU_DEP_1) | instskip(NEXT) | instid1(VALU_DEP_3)
	v_add_nc_u32_e32 v30, 0x800, v30
	v_fma_f64 v[12:13], v[42:43], v[12:13], -v[14:15]
	s_delay_alu instid0(VALU_DEP_1) | instskip(NEXT) | instid1(VALU_DEP_1)
	v_add_f64_e64 v[12:13], v[40:41], -v[12:13]
	v_fma_f64 v[14:15], v[40:41], 2.0, -v[12:13]
	ds_store_2addr_b64 v30, v[14:15], v[12:13] offset0:56 offset1:69
.LBB0_21:
	s_wait_alu 0xfffe
	s_or_b32 exec_lo, exec_lo, s1
	global_wb scope:SCOPE_SE
	s_wait_dscnt 0x0
	s_barrier_signal -1
	s_barrier_wait -1
	global_inv scope:SCOPE_SE
	s_and_saveexec_b32 s0, vcc_lo
	s_cbranch_execz .LBB0_23
; %bb.22:
	v_mul_u32_u24_e32 v12, 12, v87
	v_add_nc_u32_e32 v42, 0x400, v99
	v_add_nc_u32_e32 v46, 0x800, v99
	s_mov_b32 s14, 0x42a4c3d2
	s_mov_b32 s0, 0xe00740e9
	v_lshlrev_b32_e32 v37, 4, v12
	s_mov_b32 s15, 0x3fea55e2
	s_mov_b32 s1, 0x3fec55a7
	;; [unrolled: 1-line block ×3, first 2 shown]
	s_wait_alu 0xfffe
	s_mov_b32 s20, s14
	s_clause 0x1
	global_load_b128 v[12:15], v37, s[4:5] offset:304
	global_load_b128 v[32:35], v37, s[4:5] offset:320
	ds_load_2addr_b64 v[38:41], v99 offset0:182 offset1:208
	s_mov_b32 s2, 0x1ea71119
	s_mov_b32 s3, 0x3fe22d96
	;; [unrolled: 1-line block ×5, first 2 shown]
	s_wait_alu 0xfffe
	s_mov_b32 s26, s16
	s_mov_b32 s18, 0x2ef20147
	;; [unrolled: 1-line block ×9, first 2 shown]
	v_add_nc_u32_e32 v105, 26, v86
	s_mov_b32 s29, 0x3fe5384d
	s_wait_alu 0xfffe
	s_mov_b32 s28, s22
	s_mov_b32 s31, 0x3fedeba7
	;; [unrolled: 1-line block ×3, first 2 shown]
	v_add_nc_u32_e32 v145, 0x4e, v86
	v_add_nc_u32_e32 v165, 0x68, v86
	v_add_nc_u32_e32 v181, 0x82, v86
	v_add_nc_u32_e32 v125, 52, v86
	s_wait_loadcnt 0x1
	v_mul_f64_e32 v[30:31], v[8:9], v[12:13]
	v_mul_f64_e32 v[8:9], v[8:9], v[14:15]
	s_wait_dscnt 0x0
	s_delay_alu instid0(VALU_DEP_2) | instskip(NEXT) | instid1(VALU_DEP_2)
	v_fma_f64 v[30:31], v[38:39], v[14:15], v[30:31]
	v_fma_f64 v[12:13], v[38:39], v[12:13], -v[8:9]
	s_wait_loadcnt 0x0
	v_mul_f64_e32 v[8:9], v[10:11], v[32:33]
	v_mul_f64_e32 v[10:11], v[10:11], v[34:35]
	s_delay_alu instid0(VALU_DEP_2) | instskip(NEXT) | instid1(VALU_DEP_2)
	v_fma_f64 v[8:9], v[40:41], v[34:35], v[8:9]
	v_fma_f64 v[14:15], v[40:41], v[32:33], -v[10:11]
	s_clause 0x1
	global_load_b128 v[32:35], v37, s[4:5] offset:336
	global_load_b128 v[38:41], v37, s[4:5] offset:352
	ds_load_2addr_b64 v[42:45], v42 offset0:106 offset1:132
	s_wait_loadcnt 0x1
	v_mul_f64_e32 v[10:11], v[4:5], v[32:33]
	v_mul_f64_e32 v[4:5], v[4:5], v[34:35]
	s_wait_dscnt 0x0
	s_delay_alu instid0(VALU_DEP_2) | instskip(NEXT) | instid1(VALU_DEP_2)
	v_fma_f64 v[10:11], v[42:43], v[34:35], v[10:11]
	v_fma_f64 v[4:5], v[42:43], v[32:33], -v[4:5]
	s_wait_loadcnt 0x0
	v_mul_f64_e32 v[32:33], v[6:7], v[38:39]
	v_mul_f64_e32 v[34:35], v[6:7], v[40:41]
	s_delay_alu instid0(VALU_DEP_2) | instskip(NEXT) | instid1(VALU_DEP_2)
	v_fma_f64 v[6:7], v[44:45], v[40:41], v[32:33]
	v_fma_f64 v[32:33], v[44:45], v[38:39], -v[34:35]
	s_clause 0x1
	global_load_b128 v[38:41], v37, s[4:5] offset:368
	global_load_b128 v[42:45], v37, s[4:5] offset:384
	ds_load_2addr_b64 v[46:49], v46 offset0:30 offset1:56
	s_wait_loadcnt 0x1
	v_mul_f64_e32 v[34:35], v[0:1], v[38:39]
	v_mul_f64_e32 v[0:1], v[0:1], v[40:41]
	s_wait_dscnt 0x0
	s_delay_alu instid0(VALU_DEP_2) | instskip(NEXT) | instid1(VALU_DEP_2)
	v_fma_f64 v[34:35], v[46:47], v[40:41], v[34:35]
	v_fma_f64 v[46:47], v[46:47], v[38:39], -v[0:1]
	s_wait_loadcnt 0x0
	v_mul_f64_e32 v[0:1], v[2:3], v[42:43]
	v_mul_f64_e32 v[2:3], v[2:3], v[44:45]
	s_delay_alu instid0(VALU_DEP_2) | instskip(NEXT) | instid1(VALU_DEP_2)
	v_fma_f64 v[44:45], v[48:49], v[44:45], v[0:1]
	v_fma_f64 v[42:43], v[48:49], v[42:43], -v[2:3]
	s_clause 0x1
	global_load_b128 v[0:3], v37, s[4:5] offset:288
	global_load_b128 v[38:41], v37, s[4:5] offset:272
	ds_load_b64 v[50:51], v36
	ds_load_b64 v[52:53], v93
	;; [unrolled: 1-line block ×3, first 2 shown]
	s_wait_loadcnt 0x1
	v_mul_f64_e32 v[48:49], v[28:29], v[0:1]
	v_mul_f64_e32 v[28:29], v[28:29], v[2:3]
	s_wait_dscnt 0x2
	s_delay_alu instid0(VALU_DEP_2) | instskip(NEXT) | instid1(VALU_DEP_2)
	v_fma_f64 v[48:49], v[50:51], v[2:3], v[48:49]
	v_fma_f64 v[50:51], v[50:51], v[0:1], -v[28:29]
	s_wait_loadcnt 0x0
	v_mul_f64_e32 v[0:1], v[26:27], v[38:39]
	v_mul_f64_e32 v[2:3], v[26:27], v[40:41]
	s_wait_dscnt 0x1
	s_delay_alu instid0(VALU_DEP_2) | instskip(NEXT) | instid1(VALU_DEP_2)
	v_fma_f64 v[40:41], v[52:53], v[40:41], v[0:1]
	v_fma_f64 v[38:39], v[52:53], v[38:39], -v[2:3]
	s_clause 0x1
	global_load_b128 v[0:3], v37, s[4:5] offset:256
	global_load_b128 v[26:29], v37, s[4:5] offset:240
	s_wait_loadcnt 0x1
	v_mul_f64_e32 v[52:53], v[24:25], v[0:1]
	v_mul_f64_e32 v[24:25], v[24:25], v[2:3]
	s_wait_dscnt 0x0
	s_delay_alu instid0(VALU_DEP_2) | instskip(NEXT) | instid1(VALU_DEP_2)
	v_fma_f64 v[52:53], v[54:55], v[2:3], v[52:53]
	v_fma_f64 v[54:55], v[54:55], v[0:1], -v[24:25]
	s_wait_loadcnt 0x0
	v_mul_f64_e32 v[0:1], v[22:23], v[26:27]
	v_mul_f64_e32 v[2:3], v[22:23], v[28:29]
	ds_load_b64 v[22:23], v91
	ds_load_b64 v[56:57], v90
	s_wait_dscnt 0x1
	v_fma_f64 v[28:29], v[22:23], v[28:29], v[0:1]
	v_fma_f64 v[26:27], v[22:23], v[26:27], -v[2:3]
	s_clause 0x1
	global_load_b128 v[0:3], v37, s[4:5] offset:224
	global_load_b128 v[22:25], v37, s[4:5] offset:208
	ds_load_b64 v[58:59], v89
	s_mov_b32 s5, 0x3fddbe06
	s_mov_b32 s4, 0x4267c47c
	s_wait_loadcnt 0x1
	v_mul_f64_e32 v[36:37], v[20:21], v[0:1]
	v_mul_f64_e32 v[20:21], v[20:21], v[2:3]
	s_wait_dscnt 0x1
	s_delay_alu instid0(VALU_DEP_2) | instskip(SKIP_3) | instid1(VALU_DEP_4)
	v_fma_f64 v[36:37], v[56:57], v[2:3], v[36:37]
	s_wait_loadcnt 0x0
	v_mul_f64_e32 v[2:3], v[18:19], v[24:25]
	v_mul_f64_e32 v[18:19], v[18:19], v[22:23]
	v_fma_f64 v[56:57], v[56:57], v[0:1], -v[20:21]
	ds_load_b64 v[0:1], v88
	s_wait_dscnt 0x1
	v_fma_f64 v[22:23], v[58:59], v[22:23], -v[2:3]
	v_fma_f64 v[24:25], v[58:59], v[24:25], v[18:19]
	v_mad_co_u64_u32 v[58:59], null, s8, v86, 0
	s_wait_dscnt 0x0
	s_delay_alu instid0(VALU_DEP_3) | instskip(NEXT) | instid1(VALU_DEP_3)
	v_add_f64_e32 v[2:3], v[0:1], v[22:23]
	v_add_f64_e32 v[18:19], v[16:17], v[24:25]
	s_delay_alu instid0(VALU_DEP_2) | instskip(NEXT) | instid1(VALU_DEP_2)
	v_add_f64_e32 v[2:3], v[56:57], v[2:3]
	v_add_f64_e32 v[18:19], v[36:37], v[18:19]
	s_delay_alu instid0(VALU_DEP_2) | instskip(NEXT) | instid1(VALU_DEP_2)
	;; [unrolled: 3-line block ×11, first 2 shown]
	v_add_f64_e32 v[20:21], v[42:43], v[2:3]
	v_add_f64_e32 v[18:19], v[44:45], v[18:19]
	v_mov_b32_e32 v2, v59
	s_delay_alu instid0(VALU_DEP_1) | instskip(NEXT) | instid1(VALU_DEP_1)
	v_mad_co_u64_u32 v[2:3], null, s9, v86, v[2:3]
	v_mov_b32_e32 v59, v2
	v_add_co_u32 v2, vcc_lo, s10, v64
	s_wait_alu 0xfffd
	v_add_co_ci_u32_e32 v3, vcc_lo, s11, v65, vcc_lo
	s_delay_alu instid0(VALU_DEP_3) | instskip(SKIP_2) | instid1(VALU_DEP_1)
	v_lshlrev_b64_e32 v[58:59], 4, v[58:59]
	s_mov_b32 s10, 0x93053d00
	s_mov_b32 s11, 0xbfef11f4
	v_add_co_u32 v58, vcc_lo, v2, v58
	s_wait_alu 0xfffd
	s_delay_alu instid0(VALU_DEP_2)
	v_add_co_ci_u32_e32 v59, vcc_lo, v3, v59, vcc_lo
	global_store_b128 v[58:59], v[18:21], off
	v_add_f64_e32 v[58:59], v[54:55], v[4:5]
	v_add_f64_e64 v[18:19], v[54:55], -v[4:5]
	v_add_f64_e32 v[54:55], v[26:27], v[32:33]
	v_add_f64_e64 v[20:21], v[26:27], -v[32:33]
	;; [unrolled: 2-line block ×6, first 2 shown]
	v_add_f64_e64 v[42:43], v[24:25], -v[44:45]
	v_add_f64_e32 v[24:25], v[24:25], v[44:45]
	v_add_f64_e64 v[44:45], v[36:37], -v[34:35]
	v_add_f64_e32 v[34:35], v[36:37], v[34:35]
	;; [unrolled: 2-line block ×3, first 2 shown]
	v_add_f64_e64 v[48:49], v[28:29], -v[6:7]
	v_add_f64_e64 v[56:57], v[40:41], -v[8:9]
	v_add_f64_e32 v[40:41], v[40:41], v[8:9]
	v_add_f64_e64 v[8:9], v[52:53], -v[10:11]
	v_add_f64_e32 v[52:53], v[52:53], v[10:11]
	v_add_f64_e32 v[28:29], v[28:29], v[6:7]
	s_wait_alu 0xfffe
	v_mul_f64_e32 v[74:75], s[4:5], v[18:19]
	v_mul_f64_e32 v[72:73], s[4:5], v[20:21]
	;; [unrolled: 1-line block ×19, first 2 shown]
	s_mov_b32 s5, 0xbfddbe06
	v_mul_f64_e32 v[143:144], s[22:23], v[12:13]
	s_wait_alu 0xfffe
	v_mul_f64_e32 v[78:79], s[4:5], v[42:43]
	v_mul_f64_e32 v[82:83], s[4:5], v[22:23]
	s_mov_b32 s4, 0xebaa3ed8
	s_mov_b32 s5, 0x3fbedb7d
	v_mul_f64_e32 v[147:148], s[18:19], v[22:23]
	v_mul_f64_e32 v[149:150], s[28:29], v[32:33]
	;; [unrolled: 1-line block ×9, first 2 shown]
	v_fma_f64 v[87:88], v[34:35], s[2:3], v[84:85]
	v_fma_f64 v[111:112], v[34:35], s[12:13], v[109:110]
	;; [unrolled: 1-line block ×3, first 2 shown]
	v_fma_f64 v[6:7], v[26:27], s[2:3], -v[80:81]
	v_fma_f64 v[4:5], v[50:51], s[0:1], -v[78:79]
	v_fma_f64 v[151:152], v[34:35], s[6:7], v[149:150]
	s_wait_alu 0xfffe
	v_fma_f64 v[167:168], v[34:35], s[4:5], v[32:33]
	s_delay_alu instid0(VALU_DEP_3) | instskip(NEXT) | instid1(VALU_DEP_1)
	v_add_f64_e32 v[4:5], v[0:1], v[4:5]
	v_add_f64_e32 v[4:5], v[6:7], v[4:5]
	v_fma_f64 v[6:7], v[24:25], s[0:1], v[82:83]
	s_delay_alu instid0(VALU_DEP_1) | instskip(NEXT) | instid1(VALU_DEP_1)
	v_add_f64_e32 v[6:7], v[16:17], v[6:7]
	v_add_f64_e32 v[6:7], v[87:88], v[6:7]
	v_mul_f64_e32 v[87:88], s[26:27], v[48:49]
	s_delay_alu instid0(VALU_DEP_1) | instskip(NEXT) | instid1(VALU_DEP_1)
	v_fma_f64 v[89:90], v[54:55], s[4:5], -v[87:88]
	v_add_f64_e32 v[4:5], v[89:90], v[4:5]
	v_mul_f64_e32 v[89:90], s[26:27], v[20:21]
	s_delay_alu instid0(VALU_DEP_1) | instskip(NEXT) | instid1(VALU_DEP_1)
	v_fma_f64 v[91:92], v[28:29], s[4:5], v[89:90]
	v_add_f64_e32 v[6:7], v[91:92], v[6:7]
	v_mul_f64_e32 v[91:92], s[18:19], v[8:9]
	s_delay_alu instid0(VALU_DEP_1) | instskip(NEXT) | instid1(VALU_DEP_1)
	v_fma_f64 v[93:94], v[58:59], s[12:13], -v[91:92]
	v_add_f64_e32 v[4:5], v[93:94], v[4:5]
	v_mul_f64_e32 v[93:94], s[18:19], v[18:19]
	s_delay_alu instid0(VALU_DEP_1) | instskip(NEXT) | instid1(VALU_DEP_1)
	v_fma_f64 v[95:96], v[52:53], s[12:13], v[93:94]
	;; [unrolled: 8-line block ×3, first 2 shown]
	v_add_f64_e32 v[99:100], v[99:100], v[6:7]
	v_fma_f64 v[6:7], v[38:39], s[10:11], -v[101:102]
	s_delay_alu instid0(VALU_DEP_1) | instskip(SKIP_1) | instid1(VALU_DEP_1)
	v_add_f64_e32 v[6:7], v[6:7], v[4:5]
	v_fma_f64 v[4:5], v[30:31], s[10:11], v[103:104]
	v_add_f64_e32 v[4:5], v[4:5], v[99:100]
	v_mad_co_u64_u32 v[99:100], null, s8, v105, 0
	s_delay_alu instid0(VALU_DEP_1) | instskip(NEXT) | instid1(VALU_DEP_1)
	v_mad_co_u64_u32 v[105:106], null, s9, v105, v[100:101]
	v_mov_b32_e32 v100, v105
	v_mul_f64_e32 v[105:106], s[18:19], v[44:45]
	s_delay_alu instid0(VALU_DEP_2) | instskip(NEXT) | instid1(VALU_DEP_1)
	v_lshlrev_b64_e32 v[99:100], 4, v[99:100]
	v_add_co_u32 v99, vcc_lo, v2, v99
	s_wait_alu 0xfffd
	s_delay_alu instid0(VALU_DEP_2) | instskip(SKIP_3) | instid1(VALU_DEP_2)
	v_add_co_ci_u32_e32 v100, vcc_lo, v3, v100, vcc_lo
	global_store_b128 v[99:100], v[4:7], off
	v_mul_f64_e32 v[99:100], s[20:21], v[42:43]
	v_fma_f64 v[6:7], v[26:27], s[12:13], -v[105:106]
	v_fma_f64 v[4:5], v[50:51], s[2:3], -v[99:100]
	s_delay_alu instid0(VALU_DEP_1) | instskip(NEXT) | instid1(VALU_DEP_1)
	v_add_f64_e32 v[4:5], v[0:1], v[4:5]
	v_add_f64_e32 v[4:5], v[6:7], v[4:5]
	v_fma_f64 v[6:7], v[24:25], s[2:3], v[107:108]
	s_delay_alu instid0(VALU_DEP_1) | instskip(NEXT) | instid1(VALU_DEP_1)
	v_add_f64_e32 v[6:7], v[16:17], v[6:7]
	v_add_f64_e32 v[6:7], v[111:112], v[6:7]
	v_mul_f64_e32 v[111:112], s[24:25], v[48:49]
	s_delay_alu instid0(VALU_DEP_1) | instskip(NEXT) | instid1(VALU_DEP_1)
	v_fma_f64 v[113:114], v[54:55], s[10:11], -v[111:112]
	v_add_f64_e32 v[4:5], v[113:114], v[4:5]
	v_mul_f64_e32 v[113:114], s[24:25], v[20:21]
	s_delay_alu instid0(VALU_DEP_1) | instskip(NEXT) | instid1(VALU_DEP_1)
	v_fma_f64 v[115:116], v[28:29], s[10:11], v[113:114]
	v_add_f64_e32 v[6:7], v[115:116], v[6:7]
	v_mul_f64_e32 v[115:116], s[28:29], v[8:9]
	s_delay_alu instid0(VALU_DEP_1) | instskip(NEXT) | instid1(VALU_DEP_1)
	v_fma_f64 v[117:118], v[58:59], s[6:7], -v[115:116]
	v_add_f64_e32 v[4:5], v[117:118], v[4:5]
	v_mul_f64_e32 v[117:118], s[28:29], v[18:19]
	s_delay_alu instid0(VALU_DEP_1) | instskip(NEXT) | instid1(VALU_DEP_1)
	v_fma_f64 v[119:120], v[52:53], s[6:7], v[117:118]
	;; [unrolled: 8-line block ×3, first 2 shown]
	v_add_f64_e32 v[123:124], v[123:124], v[6:7]
	v_fma_f64 v[6:7], v[38:39], s[0:1], -v[64:65]
	s_delay_alu instid0(VALU_DEP_1) | instskip(SKIP_1) | instid1(VALU_DEP_1)
	v_add_f64_e32 v[6:7], v[6:7], v[4:5]
	v_fma_f64 v[4:5], v[30:31], s[0:1], v[76:77]
	v_add_f64_e32 v[4:5], v[4:5], v[123:124]
	v_mad_co_u64_u32 v[123:124], null, s8, v125, 0
	s_delay_alu instid0(VALU_DEP_1) | instskip(SKIP_1) | instid1(VALU_DEP_2)
	v_mad_co_u64_u32 v[124:125], null, s9, v125, v[124:125]
	v_mul_f64_e32 v[125:126], s[24:25], v[44:45]
	v_lshlrev_b64_e32 v[123:124], 4, v[123:124]
	s_delay_alu instid0(VALU_DEP_1) | instskip(SKIP_1) | instid1(VALU_DEP_2)
	v_add_co_u32 v123, vcc_lo, v2, v123
	s_wait_alu 0xfffd
	v_add_co_ci_u32_e32 v124, vcc_lo, v3, v124, vcc_lo
	global_store_b128 v[123:124], v[4:7], off
	v_mul_f64_e32 v[123:124], s[26:27], v[42:43]
	v_fma_f64 v[6:7], v[26:27], s[10:11], -v[125:126]
	s_delay_alu instid0(VALU_DEP_2) | instskip(NEXT) | instid1(VALU_DEP_1)
	v_fma_f64 v[4:5], v[50:51], s[4:5], -v[123:124]
	v_add_f64_e32 v[4:5], v[0:1], v[4:5]
	s_delay_alu instid0(VALU_DEP_1) | instskip(SKIP_1) | instid1(VALU_DEP_1)
	v_add_f64_e32 v[4:5], v[6:7], v[4:5]
	v_fma_f64 v[6:7], v[24:25], s[4:5], v[127:128]
	v_add_f64_e32 v[6:7], v[16:17], v[6:7]
	s_delay_alu instid0(VALU_DEP_1) | instskip(SKIP_1) | instid1(VALU_DEP_1)
	v_add_f64_e32 v[6:7], v[131:132], v[6:7]
	v_mul_f64_e32 v[131:132], s[30:31], v[48:49]
	v_fma_f64 v[133:134], v[54:55], s[12:13], -v[131:132]
	s_delay_alu instid0(VALU_DEP_1) | instskip(SKIP_1) | instid1(VALU_DEP_1)
	v_add_f64_e32 v[4:5], v[133:134], v[4:5]
	v_mul_f64_e32 v[133:134], s[30:31], v[20:21]
	v_fma_f64 v[135:136], v[28:29], s[12:13], v[133:134]
	s_delay_alu instid0(VALU_DEP_1) | instskip(SKIP_1) | instid1(VALU_DEP_1)
	v_add_f64_e32 v[6:7], v[135:136], v[6:7]
	v_fma_f64 v[135:136], v[58:59], s[0:1], -v[62:63]
	v_add_f64_e32 v[4:5], v[135:136], v[4:5]
	v_fma_f64 v[135:136], v[52:53], s[0:1], v[74:75]
	s_delay_alu instid0(VALU_DEP_1) | instskip(SKIP_1) | instid1(VALU_DEP_1)
	v_add_f64_e32 v[6:7], v[135:136], v[6:7]
	v_mul_f64_e32 v[135:136], s[20:21], v[56:57]
	v_fma_f64 v[137:138], v[46:47], s[2:3], -v[135:136]
	s_delay_alu instid0(VALU_DEP_1) | instskip(SKIP_1) | instid1(VALU_DEP_1)
	v_add_f64_e32 v[4:5], v[137:138], v[4:5]
	v_mul_f64_e32 v[137:138], s[20:21], v[14:15]
	v_fma_f64 v[139:140], v[40:41], s[2:3], v[137:138]
	s_delay_alu instid0(VALU_DEP_1) | instskip(SKIP_1) | instid1(VALU_DEP_1)
	v_add_f64_e32 v[139:140], v[139:140], v[6:7]
	v_fma_f64 v[6:7], v[38:39], s[6:7], -v[141:142]
	v_add_f64_e32 v[6:7], v[6:7], v[4:5]
	v_fma_f64 v[4:5], v[30:31], s[6:7], v[143:144]
	s_delay_alu instid0(VALU_DEP_1) | instskip(SKIP_1) | instid1(VALU_DEP_1)
	v_add_f64_e32 v[4:5], v[4:5], v[139:140]
	v_mad_co_u64_u32 v[139:140], null, s8, v145, 0
	v_mad_co_u64_u32 v[145:146], null, s9, v145, v[140:141]
	s_delay_alu instid0(VALU_DEP_1) | instskip(SKIP_2) | instid1(VALU_DEP_3)
	v_mov_b32_e32 v140, v145
	v_mul_f64_e32 v[145:146], s[28:29], v[44:45]
	v_mul_f64_e32 v[44:45], s[16:17], v[44:45]
	v_lshlrev_b64_e32 v[139:140], 4, v[139:140]
	s_delay_alu instid0(VALU_DEP_1) | instskip(SKIP_1) | instid1(VALU_DEP_2)
	v_add_co_u32 v139, vcc_lo, v2, v139
	s_wait_alu 0xfffd
	v_add_co_ci_u32_e32 v140, vcc_lo, v3, v140, vcc_lo
	global_store_b128 v[139:140], v[4:7], off
	v_mul_f64_e32 v[139:140], s[18:19], v[42:43]
	v_fma_f64 v[6:7], v[26:27], s[6:7], -v[145:146]
	s_delay_alu instid0(VALU_DEP_2) | instskip(NEXT) | instid1(VALU_DEP_1)
	v_fma_f64 v[4:5], v[50:51], s[12:13], -v[139:140]
	v_add_f64_e32 v[4:5], v[0:1], v[4:5]
	s_delay_alu instid0(VALU_DEP_1) | instskip(SKIP_1) | instid1(VALU_DEP_1)
	v_add_f64_e32 v[4:5], v[6:7], v[4:5]
	v_fma_f64 v[6:7], v[24:25], s[12:13], v[147:148]
	v_add_f64_e32 v[6:7], v[16:17], v[6:7]
	s_delay_alu instid0(VALU_DEP_1) | instskip(SKIP_1) | instid1(VALU_DEP_1)
	v_add_f64_e32 v[6:7], v[151:152], v[6:7]
	v_fma_f64 v[151:152], v[54:55], s[0:1], -v[66:67]
	v_add_f64_e32 v[4:5], v[151:152], v[4:5]
	v_fma_f64 v[151:152], v[28:29], s[0:1], v[72:73]
	s_delay_alu instid0(VALU_DEP_1) | instskip(SKIP_1) | instid1(VALU_DEP_1)
	v_add_f64_e32 v[6:7], v[151:152], v[6:7]
	v_mul_f64_e32 v[151:152], s[26:27], v[8:9]
	v_fma_f64 v[153:154], v[58:59], s[4:5], -v[151:152]
	s_delay_alu instid0(VALU_DEP_1) | instskip(SKIP_3) | instid1(VALU_DEP_1)
	v_add_f64_e32 v[4:5], v[153:154], v[4:5]
	v_mul_f64_e32 v[153:154], s[26:27], v[18:19]
	s_mov_b32 s27, 0x3fcea1e5
	s_mov_b32 s26, s24
	v_fma_f64 v[155:156], v[52:53], s[4:5], v[153:154]
	s_delay_alu instid0(VALU_DEP_1) | instskip(SKIP_3) | instid1(VALU_DEP_2)
	v_add_f64_e32 v[6:7], v[155:156], v[6:7]
	s_wait_alu 0xfffe
	v_mul_f64_e32 v[155:156], s[26:27], v[56:57]
	v_mul_f64_e32 v[56:57], s[18:19], v[56:57]
	v_fma_f64 v[157:158], v[46:47], s[10:11], -v[155:156]
	s_delay_alu instid0(VALU_DEP_1) | instskip(SKIP_2) | instid1(VALU_DEP_2)
	v_add_f64_e32 v[4:5], v[157:158], v[4:5]
	v_mul_f64_e32 v[157:158], s[26:27], v[14:15]
	v_mul_f64_e32 v[14:15], s[18:19], v[14:15]
	v_fma_f64 v[159:160], v[40:41], s[10:11], v[157:158]
	s_delay_alu instid0(VALU_DEP_1) | instskip(SKIP_1) | instid1(VALU_DEP_1)
	v_add_f64_e32 v[159:160], v[159:160], v[6:7]
	v_fma_f64 v[6:7], v[38:39], s[2:3], -v[161:162]
	v_add_f64_e32 v[6:7], v[6:7], v[4:5]
	v_fma_f64 v[4:5], v[30:31], s[2:3], v[163:164]
	s_delay_alu instid0(VALU_DEP_1) | instskip(SKIP_1) | instid1(VALU_DEP_1)
	v_add_f64_e32 v[4:5], v[4:5], v[159:160]
	v_mad_co_u64_u32 v[159:160], null, s8, v165, 0
	v_mad_co_u64_u32 v[165:166], null, s9, v165, v[160:161]
	s_delay_alu instid0(VALU_DEP_1) | instskip(SKIP_2) | instid1(VALU_DEP_3)
	v_mov_b32_e32 v160, v165
	v_mul_f64_e32 v[165:166], s[22:23], v[22:23]
	v_mul_f64_e32 v[22:23], s[24:25], v[22:23]
	v_lshlrev_b64_e32 v[159:160], 4, v[159:160]
	s_delay_alu instid0(VALU_DEP_1) | instskip(SKIP_1) | instid1(VALU_DEP_2)
	v_add_co_u32 v159, vcc_lo, v2, v159
	s_wait_alu 0xfffd
	v_add_co_ci_u32_e32 v160, vcc_lo, v3, v160, vcc_lo
	global_store_b128 v[159:160], v[4:7], off
	v_mul_f64_e32 v[159:160], s[22:23], v[42:43]
	v_fma_f64 v[6:7], v[26:27], s[4:5], -v[44:45]
	v_mul_f64_e32 v[42:43], s[24:25], v[42:43]
	s_delay_alu instid0(VALU_DEP_3) | instskip(NEXT) | instid1(VALU_DEP_1)
	v_fma_f64 v[4:5], v[50:51], s[6:7], -v[159:160]
	v_add_f64_e32 v[4:5], v[0:1], v[4:5]
	s_delay_alu instid0(VALU_DEP_1) | instskip(SKIP_1) | instid1(VALU_DEP_1)
	v_add_f64_e32 v[4:5], v[6:7], v[4:5]
	v_fma_f64 v[6:7], v[24:25], s[6:7], v[165:166]
	v_add_f64_e32 v[6:7], v[16:17], v[6:7]
	s_delay_alu instid0(VALU_DEP_1) | instskip(SKIP_2) | instid1(VALU_DEP_2)
	v_add_f64_e32 v[6:7], v[167:168], v[6:7]
	v_mul_f64_e32 v[167:168], s[20:21], v[48:49]
	v_mul_f64_e32 v[48:49], s[22:23], v[48:49]
	v_fma_f64 v[169:170], v[54:55], s[2:3], -v[167:168]
	s_delay_alu instid0(VALU_DEP_1) | instskip(SKIP_2) | instid1(VALU_DEP_2)
	v_add_f64_e32 v[4:5], v[169:170], v[4:5]
	v_mul_f64_e32 v[169:170], s[20:21], v[20:21]
	v_mul_f64_e32 v[20:21], s[22:23], v[20:21]
	v_fma_f64 v[171:172], v[28:29], s[2:3], v[169:170]
	s_delay_alu instid0(VALU_DEP_1) | instskip(SKIP_2) | instid1(VALU_DEP_2)
	v_add_f64_e32 v[6:7], v[171:172], v[6:7]
	v_mul_f64_e32 v[171:172], s[26:27], v[8:9]
	v_mul_f64_e32 v[8:9], s[14:15], v[8:9]
	v_fma_f64 v[173:174], v[58:59], s[10:11], -v[171:172]
	s_delay_alu instid0(VALU_DEP_1) | instskip(SKIP_2) | instid1(VALU_DEP_2)
	v_add_f64_e32 v[4:5], v[173:174], v[4:5]
	v_mul_f64_e32 v[173:174], s[26:27], v[18:19]
	v_mul_f64_e32 v[18:19], s[14:15], v[18:19]
	v_fma_f64 v[175:176], v[52:53], s[10:11], v[173:174]
	s_delay_alu instid0(VALU_DEP_1) | instskip(SKIP_1) | instid1(VALU_DEP_1)
	v_add_f64_e32 v[6:7], v[175:176], v[6:7]
	v_fma_f64 v[175:176], v[46:47], s[0:1], -v[60:61]
	v_add_f64_e32 v[4:5], v[175:176], v[4:5]
	v_fma_f64 v[175:176], v[40:41], s[0:1], v[70:71]
	s_delay_alu instid0(VALU_DEP_1) | instskip(SKIP_1) | instid1(VALU_DEP_1)
	v_add_f64_e32 v[175:176], v[175:176], v[6:7]
	v_fma_f64 v[6:7], v[38:39], s[12:13], -v[177:178]
	v_add_f64_e32 v[6:7], v[6:7], v[4:5]
	v_fma_f64 v[4:5], v[30:31], s[12:13], v[179:180]
	s_delay_alu instid0(VALU_DEP_1) | instskip(SKIP_1) | instid1(VALU_DEP_1)
	v_add_f64_e32 v[4:5], v[4:5], v[175:176]
	v_mad_co_u64_u32 v[175:176], null, s8, v181, 0
	v_mad_co_u64_u32 v[181:182], null, s9, v181, v[176:177]
	s_delay_alu instid0(VALU_DEP_1) | instskip(NEXT) | instid1(VALU_DEP_1)
	v_mov_b32_e32 v176, v181
	v_lshlrev_b64_e32 v[175:176], 4, v[175:176]
	s_delay_alu instid0(VALU_DEP_1) | instskip(SKIP_1) | instid1(VALU_DEP_2)
	v_add_co_u32 v175, vcc_lo, v2, v175
	s_wait_alu 0xfffd
	v_add_co_ci_u32_e32 v176, vcc_lo, v3, v176, vcc_lo
	global_store_b128 v[175:176], v[4:7], off
	v_fma_f64 v[4:5], v[50:51], s[10:11], -v[42:43]
	v_fma_f64 v[6:7], v[26:27], s[0:1], -v[10:11]
	v_fma_f64 v[175:176], v[34:35], s[0:1], v[68:69]
	v_fma_f64 v[42:43], v[50:51], s[10:11], v[42:43]
	v_fma_f64 v[10:11], v[26:27], s[0:1], v[10:11]
	v_add_f64_e32 v[4:5], v[0:1], v[4:5]
	s_delay_alu instid0(VALU_DEP_3) | instskip(NEXT) | instid1(VALU_DEP_2)
	v_add_f64_e32 v[42:43], v[0:1], v[42:43]
	v_add_f64_e32 v[4:5], v[6:7], v[4:5]
	v_fma_f64 v[6:7], v[24:25], s[10:11], v[22:23]
	v_fma_f64 v[22:23], v[24:25], s[10:11], -v[22:23]
	s_delay_alu instid0(VALU_DEP_4) | instskip(SKIP_1) | instid1(VALU_DEP_4)
	v_add_f64_e32 v[10:11], v[10:11], v[42:43]
	v_fma_f64 v[42:43], v[34:35], s[0:1], -v[68:69]
	v_add_f64_e32 v[6:7], v[16:17], v[6:7]
	s_delay_alu instid0(VALU_DEP_4) | instskip(NEXT) | instid1(VALU_DEP_2)
	v_add_f64_e32 v[22:23], v[16:17], v[22:23]
	v_add_f64_e32 v[6:7], v[175:176], v[6:7]
	v_fma_f64 v[175:176], v[54:55], s[6:7], -v[48:49]
	s_delay_alu instid0(VALU_DEP_3) | instskip(SKIP_2) | instid1(VALU_DEP_4)
	v_add_f64_e32 v[22:23], v[42:43], v[22:23]
	v_fma_f64 v[42:43], v[54:55], s[6:7], v[48:49]
	v_fma_f64 v[48:49], v[26:27], s[10:11], v[125:126]
	v_add_f64_e32 v[4:5], v[175:176], v[4:5]
	v_fma_f64 v[175:176], v[28:29], s[6:7], v[20:21]
	s_delay_alu instid0(VALU_DEP_4) | instskip(SKIP_2) | instid1(VALU_DEP_4)
	v_add_f64_e32 v[10:11], v[42:43], v[10:11]
	v_fma_f64 v[20:21], v[28:29], s[6:7], -v[20:21]
	v_fma_f64 v[42:43], v[24:25], s[4:5], -v[127:128]
	v_add_f64_e32 v[6:7], v[175:176], v[6:7]
	v_fma_f64 v[175:176], v[58:59], s[2:3], -v[8:9]
	v_fma_f64 v[8:9], v[58:59], s[2:3], v[8:9]
	v_add_f64_e32 v[20:21], v[20:21], v[22:23]
	v_fma_f64 v[22:23], v[34:35], s[6:7], -v[149:150]
	s_delay_alu instid0(VALU_DEP_4) | instskip(SKIP_4) | instid1(VALU_DEP_4)
	v_add_f64_e32 v[4:5], v[175:176], v[4:5]
	v_fma_f64 v[175:176], v[52:53], s[2:3], v[18:19]
	v_add_f64_e32 v[8:9], v[8:9], v[10:11]
	v_fma_f64 v[10:11], v[52:53], s[2:3], -v[18:19]
	v_fma_f64 v[18:19], v[46:47], s[12:13], v[56:57]
	v_add_f64_e32 v[6:7], v[175:176], v[6:7]
	v_fma_f64 v[175:176], v[46:47], s[12:13], -v[56:57]
	s_delay_alu instid0(VALU_DEP_4) | instskip(NEXT) | instid1(VALU_DEP_4)
	v_add_f64_e32 v[10:11], v[10:11], v[20:21]
	v_add_f64_e32 v[8:9], v[18:19], v[8:9]
	v_fma_f64 v[18:19], v[34:35], s[4:5], -v[32:33]
	v_fma_f64 v[20:21], v[30:31], s[12:13], -v[179:180]
	;; [unrolled: 1-line block ×4, first 2 shown]
	v_add_f64_e32 v[4:5], v[175:176], v[4:5]
	v_fma_f64 v[175:176], v[40:41], s[12:13], v[14:15]
	v_fma_f64 v[14:15], v[40:41], s[12:13], -v[14:15]
	s_delay_alu instid0(VALU_DEP_2) | instskip(SKIP_1) | instid1(VALU_DEP_3)
	v_add_f64_e32 v[175:176], v[175:176], v[6:7]
	v_fma_f64 v[6:7], v[38:39], s[4:5], -v[36:37]
	v_add_f64_e32 v[14:15], v[14:15], v[10:11]
	v_fma_f64 v[10:11], v[38:39], s[4:5], v[36:37]
	v_fma_f64 v[36:37], v[50:51], s[0:1], v[78:79]
	s_delay_alu instid0(VALU_DEP_4) | instskip(SKIP_3) | instid1(VALU_DEP_3)
	v_add_f64_e32 v[6:7], v[6:7], v[4:5]
	v_fma_f64 v[4:5], v[30:31], s[4:5], v[12:13]
	v_fma_f64 v[12:13], v[30:31], s[4:5], -v[12:13]
	v_add_f64_e32 v[10:11], v[10:11], v[8:9]
	v_add_f64_e32 v[4:5], v[4:5], v[175:176]
	s_delay_alu instid0(VALU_DEP_3) | instskip(SKIP_3) | instid1(VALU_DEP_3)
	v_add_f64_e32 v[8:9], v[12:13], v[14:15]
	v_fma_f64 v[12:13], v[50:51], s[6:7], v[159:160]
	v_fma_f64 v[14:15], v[26:27], s[4:5], v[44:45]
	v_fma_f64 v[44:45], v[24:25], s[2:3], -v[107:108]
	v_add_f64_e32 v[12:13], v[0:1], v[12:13]
	s_delay_alu instid0(VALU_DEP_1) | instskip(SKIP_1) | instid1(VALU_DEP_1)
	v_add_f64_e32 v[12:13], v[14:15], v[12:13]
	v_fma_f64 v[14:15], v[24:25], s[6:7], -v[165:166]
	v_add_f64_e32 v[14:15], v[16:17], v[14:15]
	s_delay_alu instid0(VALU_DEP_1) | instskip(SKIP_1) | instid1(VALU_DEP_1)
	v_add_f64_e32 v[14:15], v[18:19], v[14:15]
	v_fma_f64 v[18:19], v[54:55], s[2:3], v[167:168]
	v_add_f64_e32 v[12:13], v[18:19], v[12:13]
	v_fma_f64 v[18:19], v[28:29], s[2:3], -v[169:170]
	s_delay_alu instid0(VALU_DEP_1) | instskip(SKIP_1) | instid1(VALU_DEP_1)
	v_add_f64_e32 v[14:15], v[18:19], v[14:15]
	v_fma_f64 v[18:19], v[58:59], s[10:11], v[171:172]
	v_add_f64_e32 v[12:13], v[18:19], v[12:13]
	v_fma_f64 v[18:19], v[52:53], s[10:11], -v[173:174]
	s_delay_alu instid0(VALU_DEP_1) | instskip(SKIP_3) | instid1(VALU_DEP_3)
	v_add_f64_e32 v[14:15], v[18:19], v[14:15]
	v_fma_f64 v[18:19], v[46:47], s[0:1], v[60:61]
	v_fma_f64 v[60:61], v[34:35], s[12:13], -v[109:110]
	v_fma_f64 v[34:35], v[34:35], s[2:3], -v[84:85]
	v_add_f64_e32 v[12:13], v[18:19], v[12:13]
	v_fma_f64 v[18:19], v[40:41], s[0:1], -v[70:71]
	s_delay_alu instid0(VALU_DEP_1) | instskip(SKIP_1) | instid1(VALU_DEP_1)
	v_add_f64_e32 v[18:19], v[18:19], v[14:15]
	v_fma_f64 v[14:15], v[38:39], s[12:13], v[177:178]
	v_add_f64_e32 v[14:15], v[14:15], v[12:13]
	s_delay_alu instid0(VALU_DEP_3) | instskip(SKIP_2) | instid1(VALU_DEP_2)
	v_add_f64_e32 v[12:13], v[20:21], v[18:19]
	v_fma_f64 v[18:19], v[50:51], s[12:13], v[139:140]
	v_fma_f64 v[20:21], v[26:27], s[6:7], v[145:146]
	v_add_f64_e32 v[18:19], v[0:1], v[18:19]
	s_delay_alu instid0(VALU_DEP_1) | instskip(SKIP_2) | instid1(VALU_DEP_2)
	v_add_f64_e32 v[18:19], v[20:21], v[18:19]
	v_fma_f64 v[20:21], v[24:25], s[12:13], -v[147:148]
	v_fma_f64 v[24:25], v[24:25], s[0:1], -v[82:83]
	v_add_f64_e32 v[20:21], v[16:17], v[20:21]
	s_delay_alu instid0(VALU_DEP_1) | instskip(SKIP_1) | instid1(VALU_DEP_1)
	v_add_f64_e32 v[20:21], v[22:23], v[20:21]
	v_fma_f64 v[22:23], v[54:55], s[0:1], v[66:67]
	v_add_f64_e32 v[18:19], v[22:23], v[18:19]
	v_fma_f64 v[22:23], v[28:29], s[0:1], -v[72:73]
	s_delay_alu instid0(VALU_DEP_1) | instskip(SKIP_1) | instid1(VALU_DEP_1)
	v_add_f64_e32 v[20:21], v[22:23], v[20:21]
	v_fma_f64 v[22:23], v[58:59], s[4:5], v[151:152]
	v_add_f64_e32 v[18:19], v[22:23], v[18:19]
	v_fma_f64 v[22:23], v[52:53], s[4:5], -v[153:154]
	s_delay_alu instid0(VALU_DEP_1) | instskip(SKIP_1) | instid1(VALU_DEP_1)
	v_add_f64_e32 v[20:21], v[22:23], v[20:21]
	v_fma_f64 v[22:23], v[46:47], s[10:11], v[155:156]
	v_add_f64_e32 v[18:19], v[22:23], v[18:19]
	v_fma_f64 v[22:23], v[40:41], s[10:11], -v[157:158]
	s_delay_alu instid0(VALU_DEP_1) | instskip(SKIP_1) | instid1(VALU_DEP_1)
	v_add_f64_e32 v[22:23], v[22:23], v[20:21]
	v_fma_f64 v[20:21], v[38:39], s[2:3], v[161:162]
	v_add_f64_e32 v[20:21], v[20:21], v[18:19]
	s_delay_alu instid0(VALU_DEP_3) | instskip(SKIP_4) | instid1(VALU_DEP_4)
	v_add_f64_e32 v[18:19], v[32:33], v[22:23]
	v_fma_f64 v[22:23], v[50:51], s[4:5], v[123:124]
	v_fma_f64 v[32:33], v[50:51], s[2:3], v[99:100]
	;; [unrolled: 1-line block ×4, first 2 shown]
	v_add_f64_e32 v[22:23], v[0:1], v[22:23]
	s_delay_alu instid0(VALU_DEP_4)
	v_add_f64_e32 v[32:33], v[0:1], v[32:33]
	v_add_f64_e32 v[0:1], v[0:1], v[36:37]
	;; [unrolled: 1-line block ×5, first 2 shown]
	v_fma_f64 v[24:25], v[54:55], s[12:13], v[131:132]
	v_fma_f64 v[44:45], v[54:55], s[10:11], v[111:112]
	;; [unrolled: 1-line block ×3, first 2 shown]
	v_add_f64_e32 v[22:23], v[48:49], v[22:23]
	v_add_f64_e32 v[32:33], v[50:51], v[32:33]
	v_fma_f64 v[48:49], v[28:29], s[12:13], -v[133:134]
	v_add_f64_e32 v[36:37], v[56:57], v[36:37]
	v_add_f64_e32 v[42:43], v[60:61], v[42:43]
	v_fma_f64 v[50:51], v[28:29], s[10:11], -v[113:114]
	v_add_f64_e32 v[0:1], v[26:27], v[0:1]
	v_fma_f64 v[28:29], v[28:29], s[4:5], -v[89:90]
	v_add_f64_e32 v[16:17], v[34:35], v[16:17]
	v_fma_f64 v[26:27], v[58:59], s[0:1], v[62:63]
	v_fma_f64 v[34:35], v[58:59], s[6:7], v[115:116]
	;; [unrolled: 1-line block ×3, first 2 shown]
	v_add_f64_e32 v[22:23], v[24:25], v[22:23]
	v_add_f64_e32 v[32:33], v[44:45], v[32:33]
	v_fma_f64 v[44:45], v[52:53], s[6:7], -v[117:118]
	v_add_f64_e32 v[24:25], v[48:49], v[36:37]
	v_fma_f64 v[48:49], v[52:53], s[12:13], -v[93:94]
	;; [unrolled: 2-line block ×3, first 2 shown]
	v_add_f64_e32 v[0:1], v[54:55], v[0:1]
	v_add_f64_e32 v[16:17], v[28:29], v[16:17]
	v_fma_f64 v[28:29], v[46:47], s[2:3], v[135:136]
	v_fma_f64 v[50:51], v[46:47], s[4:5], v[119:120]
	v_fma_f64 v[46:47], v[46:47], s[6:7], v[95:96]
	v_add_f64_e32 v[22:23], v[26:27], v[22:23]
	v_add_f64_e32 v[26:27], v[34:35], v[32:33]
	v_fma_f64 v[34:35], v[40:41], s[2:3], -v[137:138]
	v_add_f64_e32 v[32:33], v[44:45], v[36:37]
	v_add_f64_e32 v[24:25], v[42:43], v[24:25]
	v_fma_f64 v[36:37], v[40:41], s[4:5], -v[121:122]
	v_add_f64_e32 v[0:1], v[56:57], v[0:1]
	v_fma_f64 v[40:41], v[40:41], s[6:7], -v[97:98]
	v_add_f64_e32 v[16:17], v[48:49], v[16:17]
	v_fma_f64 v[42:43], v[38:39], s[6:7], v[141:142]
	v_fma_f64 v[44:45], v[38:39], s[0:1], v[64:65]
	;; [unrolled: 1-line block ×3, first 2 shown]
	v_add_f64_e32 v[22:23], v[28:29], v[22:23]
	v_add_f64_e32 v[26:27], v[50:51], v[26:27]
	;; [unrolled: 1-line block ×4, first 2 shown]
	v_fma_f64 v[34:35], v[30:31], s[6:7], -v[143:144]
	v_fma_f64 v[36:37], v[30:31], s[0:1], -v[76:77]
	v_add_f64_e32 v[0:1], v[46:47], v[0:1]
	v_fma_f64 v[30:31], v[30:31], s[10:11], -v[103:104]
	v_add_f64_e32 v[16:17], v[40:41], v[16:17]
	v_add_f64_e32 v[24:25], v[42:43], v[22:23]
	v_add_nc_u32_e32 v43, 0xd0, v86
	v_add_nc_u32_e32 v42, 0xb6, v86
	s_delay_alu instid0(VALU_DEP_2)
	v_mad_co_u64_u32 v[40:41], null, s8, v43, 0
	v_add_nc_u32_e32 v46, 0x9c, v86
	v_add_f64_e32 v[22:23], v[34:35], v[28:29]
	v_add_f64_e32 v[28:29], v[44:45], v[26:27]
	v_add_f64_e32 v[26:27], v[36:37], v[32:33]
	v_mad_co_u64_u32 v[36:37], null, s8, v42, 0
	v_mad_co_u64_u32 v[34:35], null, s8, v46, 0
	v_add_f64_e32 v[32:33], v[38:39], v[0:1]
	v_add_f64_e32 v[30:31], v[30:31], v[16:17]
	s_delay_alu instid0(VALU_DEP_4) | instskip(NEXT) | instid1(VALU_DEP_4)
	v_dual_mov_b32 v1, v37 :: v_dual_add_nc_u32 v44, 0x138, v86
	v_mov_b32_e32 v0, v35
	s_delay_alu instid0(VALU_DEP_1) | instskip(NEXT) | instid1(VALU_DEP_1)
	v_mad_co_u64_u32 v[16:17], null, s9, v46, v[0:1]
	v_mov_b32_e32 v35, v16
	v_mad_co_u64_u32 v[0:1], null, s9, v42, v[1:2]
	v_dual_mov_b32 v1, v41 :: v_dual_add_nc_u32 v42, 0x11e, v86
	s_delay_alu instid0(VALU_DEP_3) | instskip(NEXT) | instid1(VALU_DEP_2)
	v_lshlrev_b64_e32 v[34:35], 4, v[34:35]
	v_mad_co_u64_u32 v[38:39], null, s9, v43, v[1:2]
	v_add_nc_u32_e32 v1, 0xea, v86
	v_mov_b32_e32 v37, v0
	s_delay_alu instid0(VALU_DEP_4)
	v_add_co_u32 v34, vcc_lo, v2, v34
	s_wait_alu 0xfffd
	v_add_co_ci_u32_e32 v35, vcc_lo, v3, v35, vcc_lo
	v_mad_co_u64_u32 v[16:17], null, s8, v1, 0
	v_mov_b32_e32 v41, v38
	v_lshlrev_b64_e32 v[36:37], 4, v[36:37]
	s_delay_alu instid0(VALU_DEP_2) | instskip(NEXT) | instid1(VALU_DEP_4)
	v_lshlrev_b64_e32 v[40:41], 4, v[40:41]
	v_mov_b32_e32 v0, v17
	s_delay_alu instid0(VALU_DEP_3) | instskip(SKIP_1) | instid1(VALU_DEP_4)
	v_add_co_u32 v36, vcc_lo, v2, v36
	s_wait_alu 0xfffd
	v_add_co_ci_u32_e32 v37, vcc_lo, v3, v37, vcc_lo
	s_delay_alu instid0(VALU_DEP_3) | instskip(SKIP_4) | instid1(VALU_DEP_3)
	v_mad_co_u64_u32 v[0:1], null, s9, v1, v[0:1]
	v_add_nc_u32_e32 v1, 0x104, v86
	v_add_co_u32 v40, vcc_lo, v2, v40
	s_wait_alu 0xfffd
	v_add_co_ci_u32_e32 v41, vcc_lo, v3, v41, vcc_lo
	v_mad_co_u64_u32 v[38:39], null, s8, v1, 0
	v_mov_b32_e32 v17, v0
	s_delay_alu instid0(VALU_DEP_1) | instskip(NEXT) | instid1(VALU_DEP_3)
	v_lshlrev_b64_e32 v[16:17], 4, v[16:17]
	v_mov_b32_e32 v0, v39
	s_delay_alu instid0(VALU_DEP_1) | instskip(NEXT) | instid1(VALU_DEP_3)
	v_mad_co_u64_u32 v[0:1], null, s9, v1, v[0:1]
	v_add_co_u32 v16, vcc_lo, v2, v16
	s_wait_alu 0xfffd
	s_delay_alu instid0(VALU_DEP_4) | instskip(NEXT) | instid1(VALU_DEP_3)
	v_add_co_ci_u32_e32 v17, vcc_lo, v3, v17, vcc_lo
	v_mov_b32_e32 v39, v0
	v_mad_co_u64_u32 v[0:1], null, s8, v42, 0
	s_delay_alu instid0(VALU_DEP_2) | instskip(NEXT) | instid1(VALU_DEP_2)
	v_lshlrev_b64_e32 v[38:39], 4, v[38:39]
	v_mad_co_u64_u32 v[42:43], null, s9, v42, v[1:2]
	s_delay_alu instid0(VALU_DEP_2) | instskip(SKIP_1) | instid1(VALU_DEP_3)
	v_add_co_u32 v38, vcc_lo, v2, v38
	s_wait_alu 0xfffd
	v_add_co_ci_u32_e32 v39, vcc_lo, v3, v39, vcc_lo
	s_delay_alu instid0(VALU_DEP_3) | instskip(SKIP_1) | instid1(VALU_DEP_2)
	v_mov_b32_e32 v1, v42
	v_mad_co_u64_u32 v[42:43], null, s8, v44, 0
	v_lshlrev_b64_e32 v[0:1], 4, v[0:1]
	s_delay_alu instid0(VALU_DEP_2) | instskip(NEXT) | instid1(VALU_DEP_2)
	v_mad_co_u64_u32 v[43:44], null, s9, v44, v[43:44]
	v_add_co_u32 v0, vcc_lo, v2, v0
	s_wait_alu 0xfffd
	s_delay_alu instid0(VALU_DEP_3) | instskip(NEXT) | instid1(VALU_DEP_3)
	v_add_co_ci_u32_e32 v1, vcc_lo, v3, v1, vcc_lo
	v_lshlrev_b64_e32 v[42:43], 4, v[42:43]
	s_delay_alu instid0(VALU_DEP_1) | instskip(SKIP_1) | instid1(VALU_DEP_2)
	v_add_co_u32 v2, vcc_lo, v2, v42
	s_wait_alu 0xfffd
	v_add_co_ci_u32_e32 v3, vcc_lo, v3, v43, vcc_lo
	s_clause 0x6
	global_store_b128 v[34:35], v[4:7], off
	global_store_b128 v[36:37], v[8:11], off
	;; [unrolled: 1-line block ×7, first 2 shown]
.LBB0_23:
	s_nop 0
	s_sendmsg sendmsg(MSG_DEALLOC_VGPRS)
	s_endpgm
	.section	.rodata,"a",@progbits
	.p2align	6, 0x0
	.amdhsa_kernel fft_rtc_back_len338_factors_13_2_13_wgs_52_tpt_26_halfLds_dp_ip_CI_sbrr_dirReg
		.amdhsa_group_segment_fixed_size 0
		.amdhsa_private_segment_fixed_size 0
		.amdhsa_kernarg_size 88
		.amdhsa_user_sgpr_count 2
		.amdhsa_user_sgpr_dispatch_ptr 0
		.amdhsa_user_sgpr_queue_ptr 0
		.amdhsa_user_sgpr_kernarg_segment_ptr 1
		.amdhsa_user_sgpr_dispatch_id 0
		.amdhsa_user_sgpr_private_segment_size 0
		.amdhsa_wavefront_size32 1
		.amdhsa_uses_dynamic_stack 0
		.amdhsa_enable_private_segment 0
		.amdhsa_system_sgpr_workgroup_id_x 1
		.amdhsa_system_sgpr_workgroup_id_y 0
		.amdhsa_system_sgpr_workgroup_id_z 0
		.amdhsa_system_sgpr_workgroup_info 0
		.amdhsa_system_vgpr_workitem_id 0
		.amdhsa_next_free_vgpr 183
		.amdhsa_next_free_sgpr 46
		.amdhsa_reserve_vcc 1
		.amdhsa_float_round_mode_32 0
		.amdhsa_float_round_mode_16_64 0
		.amdhsa_float_denorm_mode_32 3
		.amdhsa_float_denorm_mode_16_64 3
		.amdhsa_fp16_overflow 0
		.amdhsa_workgroup_processor_mode 1
		.amdhsa_memory_ordered 1
		.amdhsa_forward_progress 0
		.amdhsa_round_robin_scheduling 0
		.amdhsa_exception_fp_ieee_invalid_op 0
		.amdhsa_exception_fp_denorm_src 0
		.amdhsa_exception_fp_ieee_div_zero 0
		.amdhsa_exception_fp_ieee_overflow 0
		.amdhsa_exception_fp_ieee_underflow 0
		.amdhsa_exception_fp_ieee_inexact 0
		.amdhsa_exception_int_div_zero 0
	.end_amdhsa_kernel
	.text
.Lfunc_end0:
	.size	fft_rtc_back_len338_factors_13_2_13_wgs_52_tpt_26_halfLds_dp_ip_CI_sbrr_dirReg, .Lfunc_end0-fft_rtc_back_len338_factors_13_2_13_wgs_52_tpt_26_halfLds_dp_ip_CI_sbrr_dirReg
                                        ; -- End function
	.section	.AMDGPU.csdata,"",@progbits
; Kernel info:
; codeLenInByte = 11468
; NumSgprs: 48
; NumVgprs: 183
; ScratchSize: 0
; MemoryBound: 1
; FloatMode: 240
; IeeeMode: 1
; LDSByteSize: 0 bytes/workgroup (compile time only)
; SGPRBlocks: 5
; VGPRBlocks: 22
; NumSGPRsForWavesPerEU: 48
; NumVGPRsForWavesPerEU: 183
; Occupancy: 8
; WaveLimiterHint : 1
; COMPUTE_PGM_RSRC2:SCRATCH_EN: 0
; COMPUTE_PGM_RSRC2:USER_SGPR: 2
; COMPUTE_PGM_RSRC2:TRAP_HANDLER: 0
; COMPUTE_PGM_RSRC2:TGID_X_EN: 1
; COMPUTE_PGM_RSRC2:TGID_Y_EN: 0
; COMPUTE_PGM_RSRC2:TGID_Z_EN: 0
; COMPUTE_PGM_RSRC2:TIDIG_COMP_CNT: 0
	.text
	.p2alignl 7, 3214868480
	.fill 96, 4, 3214868480
	.type	__hip_cuid_dbe4c66e9d8d41d9,@object ; @__hip_cuid_dbe4c66e9d8d41d9
	.section	.bss,"aw",@nobits
	.globl	__hip_cuid_dbe4c66e9d8d41d9
__hip_cuid_dbe4c66e9d8d41d9:
	.byte	0                               ; 0x0
	.size	__hip_cuid_dbe4c66e9d8d41d9, 1

	.ident	"AMD clang version 19.0.0git (https://github.com/RadeonOpenCompute/llvm-project roc-6.4.0 25133 c7fe45cf4b819c5991fe208aaa96edf142730f1d)"
	.section	".note.GNU-stack","",@progbits
	.addrsig
	.addrsig_sym __hip_cuid_dbe4c66e9d8d41d9
	.amdgpu_metadata
---
amdhsa.kernels:
  - .args:
      - .actual_access:  read_only
        .address_space:  global
        .offset:         0
        .size:           8
        .value_kind:     global_buffer
      - .offset:         8
        .size:           8
        .value_kind:     by_value
      - .actual_access:  read_only
        .address_space:  global
        .offset:         16
        .size:           8
        .value_kind:     global_buffer
      - .actual_access:  read_only
        .address_space:  global
        .offset:         24
        .size:           8
        .value_kind:     global_buffer
      - .offset:         32
        .size:           8
        .value_kind:     by_value
      - .actual_access:  read_only
        .address_space:  global
        .offset:         40
        .size:           8
        .value_kind:     global_buffer
      - .actual_access:  read_only
        .address_space:  global
        .offset:         48
        .size:           8
        .value_kind:     global_buffer
      - .offset:         56
        .size:           4
        .value_kind:     by_value
      - .actual_access:  read_only
        .address_space:  global
        .offset:         64
        .size:           8
        .value_kind:     global_buffer
      - .actual_access:  read_only
        .address_space:  global
        .offset:         72
        .size:           8
        .value_kind:     global_buffer
      - .address_space:  global
        .offset:         80
        .size:           8
        .value_kind:     global_buffer
    .group_segment_fixed_size: 0
    .kernarg_segment_align: 8
    .kernarg_segment_size: 88
    .language:       OpenCL C
    .language_version:
      - 2
      - 0
    .max_flat_workgroup_size: 52
    .name:           fft_rtc_back_len338_factors_13_2_13_wgs_52_tpt_26_halfLds_dp_ip_CI_sbrr_dirReg
    .private_segment_fixed_size: 0
    .sgpr_count:     48
    .sgpr_spill_count: 0
    .symbol:         fft_rtc_back_len338_factors_13_2_13_wgs_52_tpt_26_halfLds_dp_ip_CI_sbrr_dirReg.kd
    .uniform_work_group_size: 1
    .uses_dynamic_stack: false
    .vgpr_count:     183
    .vgpr_spill_count: 0
    .wavefront_size: 32
    .workgroup_processor_mode: 1
amdhsa.target:   amdgcn-amd-amdhsa--gfx1201
amdhsa.version:
  - 1
  - 2
...

	.end_amdgpu_metadata
